;; amdgpu-corpus repo=ROCm/rocFFT kind=compiled arch=gfx950 opt=O3
	.text
	.amdgcn_target "amdgcn-amd-amdhsa--gfx950"
	.amdhsa_code_object_version 6
	.protected	bluestein_single_back_len8192_dim1_sp_op_CI_CI ; -- Begin function bluestein_single_back_len8192_dim1_sp_op_CI_CI
	.globl	bluestein_single_back_len8192_dim1_sp_op_CI_CI
	.p2align	8
	.type	bluestein_single_back_len8192_dim1_sp_op_CI_CI,@function
bluestein_single_back_len8192_dim1_sp_op_CI_CI: ; @bluestein_single_back_len8192_dim1_sp_op_CI_CI
; %bb.0:
	s_load_dwordx4 s[12:15], s[0:1], 0x28
	s_mov_b32 s3, 0
	s_waitcnt lgkmcnt(0)
	v_mov_b32_e32 v2, s12
	v_mov_b32_e32 v3, s13
	v_cmp_lt_u64_e32 vcc, s[2:3], v[2:3]
	s_and_saveexec_b64 s[4:5], vcc
	s_cbranch_execz .LBB0_2
; %bb.1:
	s_load_dwordx4 s[4:7], s[0:1], 0x18
	s_load_dwordx4 s[8:11], s[0:1], 0x0
	v_mov_b64_e32 v[90:91], s[2:3]
	v_mov_b32_e32 v2, s14
	v_mov_b32_e32 v3, s15
	s_waitcnt lgkmcnt(0)
	s_load_dwordx4 s[16:19], s[4:5], 0x0
	s_add_u32 s14, s8, 0x10000
	s_addc_u32 s15, s9, 0
	v_lshlrev_b32_e32 v1, 3, v0
	v_or_b32_e32 v48, 0x200, v0
	s_waitcnt lgkmcnt(0)
	v_mad_u64_u32 v[4:5], s[2:3], s18, v90, 0
	v_mov_b32_e32 v6, v5
	v_mad_u64_u32 v[6:7], s[2:3], s19, v90, v[6:7]
	v_mov_b32_e32 v5, v6
	v_mad_u64_u32 v[6:7], s[2:3], s16, v0, 0
	v_mov_b32_e32 v8, v7
	v_mad_u64_u32 v[8:9], s[2:3], s17, v0, v[8:9]
	v_mov_b32_e32 v7, v8
	v_lshl_add_u64 v[2:3], v[4:5], 3, v[2:3]
	v_lshl_add_u64 v[2:3], v[6:7], 3, v[2:3]
	s_lshl_b64 s[2:3], s[16:17], 12
	global_load_dwordx2 v[4:5], v[2:3], off
	global_load_dwordx2 v[58:59], v1, s[8:9]
	v_lshl_add_u64 v[2:3], v[2:3], 0, s[2:3]
	v_lshlrev_b32_e32 v125, 3, v48
	global_load_dwordx2 v[6:7], v[2:3], off
	global_load_dwordx2 v[60:61], v125, s[8:9]
	v_or_b32_e32 v49, 0x400, v0
	v_lshl_add_u64 v[2:3], v[2:3], 0, s[2:3]
	v_lshlrev_b32_e32 v132, 3, v49
	v_or_b32_e32 v50, 0x600, v0
	global_load_dwordx2 v[8:9], v[2:3], off
	global_load_dwordx2 v[62:63], v132, s[8:9]
	v_lshl_add_u64 v[2:3], v[2:3], 0, s[2:3]
	v_lshlrev_b32_e32 v133, 3, v50
	global_load_dwordx2 v[66:67], v133, s[8:9]
	global_load_dwordx2 v[10:11], v[2:3], off
	v_lshl_add_u64 v[2:3], v[2:3], 0, s[2:3]
	global_load_dwordx2 v[12:13], v[2:3], off
	v_or_b32_e32 v127, 0x4000, v1
	v_lshl_add_u64 v[2:3], v[2:3], 0, s[2:3]
	v_or_b32_e32 v129, 0x5000, v1
	global_load_dwordx2 v[64:65], v127, s[8:9]
	global_load_dwordx2 v[14:15], v[2:3], off
	global_load_dwordx2 v[70:71], v129, s[8:9]
	v_lshl_add_u64 v[2:3], v[2:3], 0, s[2:3]
	global_load_dwordx2 v[16:17], v[2:3], off
	v_or_b32_e32 v130, 0x6000, v1
	global_load_dwordx2 v[68:69], v130, s[8:9]
	v_lshl_add_u64 v[2:3], v[2:3], 0, s[2:3]
	v_or_b32_e32 v131, 0x7000, v1
	global_load_dwordx2 v[18:19], v[2:3], off
	global_load_dwordx2 v[72:73], v131, s[8:9]
	v_lshl_add_u64 v[2:3], v[2:3], 0, s[2:3]
	global_load_dwordx2 v[20:21], v[2:3], off
	v_or_b32_e32 v115, 0x8000, v1
	v_lshl_add_u64 v[2:3], v[2:3], 0, s[2:3]
	v_or_b32_e32 v119, 0x9000, v1
	global_load_dwordx2 v[74:75], v115, s[8:9]
	global_load_dwordx2 v[22:23], v[2:3], off
	global_load_dwordx2 v[78:79], v119, s[8:9]
	v_lshl_add_u64 v[2:3], v[2:3], 0, s[2:3]
	global_load_dwordx2 v[24:25], v[2:3], off
	v_or_b32_e32 v123, 0xa000, v1
	global_load_dwordx2 v[76:77], v123, s[8:9]
	v_lshl_add_u64 v[2:3], v[2:3], 0, s[2:3]
	v_or_b32_e32 v128, 0xb000, v1
	global_load_dwordx2 v[26:27], v[2:3], off
	global_load_dwordx2 v[82:83], v128, s[8:9]
	v_lshl_add_u64 v[2:3], v[2:3], 0, s[2:3]
	global_load_dwordx2 v[28:29], v[2:3], off
	v_or_b32_e32 v109, 0xc000, v1
	v_lshl_add_u64 v[2:3], v[2:3], 0, s[2:3]
	v_or_b32_e32 v111, 0xd000, v1
	global_load_dwordx2 v[80:81], v109, s[8:9]
	global_load_dwordx2 v[86:87], v111, s[8:9]
	global_load_dwordx2 v[30:31], v[2:3], off
	v_lshl_add_u64 v[2:3], v[2:3], 0, s[2:3]
	v_or_b32_e32 v117, 0xe000, v1
	v_or_b32_e32 v121, 0xf000, v1
	global_load_dwordx2 v[32:33], v[2:3], off
	global_load_dwordx2 v[84:85], v117, s[8:9]
	v_lshl_add_u64 v[2:3], v[2:3], 0, s[2:3]
	global_load_dwordx2 v[88:89], v121, s[8:9]
	global_load_dwordx2 v[34:35], v[2:3], off
	s_load_dwordx4 s[4:7], s[6:7], 0x0
	s_mov_b32 s2, 0x3f3504f3
	s_mov_b32 s8, 0x3f6c835e
	;; [unrolled: 1-line block ×3, first 2 shown]
	v_lshlrev_b32_e32 v91, 7, v0
	v_and_b32_e32 v102, 63, v0
	s_load_dwordx2 s[0:1], s[0:1], 0x38
	s_waitcnt vmcnt(30)
	v_mul_f32_e32 v2, v5, v59
	v_mul_f32_e32 v3, v4, v59
	v_fmac_f32_e32 v2, v4, v58
	v_fma_f32 v3, v5, v58, -v3
	s_waitcnt vmcnt(28)
	v_mul_f32_e32 v4, v7, v61
	v_mul_f32_e32 v5, v6, v61
	v_fmac_f32_e32 v4, v6, v60
	v_fma_f32 v5, v7, v60, -v5
	ds_write2st64_b64 v1, v[2:3], v[4:5] offset1:8
	s_waitcnt vmcnt(26)
	v_mul_f32_e32 v2, v8, v63
	v_mul_f32_e32 v6, v9, v63
	v_fma_f32 v7, v9, v62, -v2
	v_fmac_f32_e32 v6, v8, v62
	s_waitcnt vmcnt(24)
	v_mul_f32_e32 v2, v11, v67
	v_mul_f32_e32 v3, v10, v67
	v_fmac_f32_e32 v2, v10, v66
	v_fma_f32 v3, v11, v66, -v3
	ds_write2st64_b64 v1, v[6:7], v[2:3] offset0:16 offset1:24
	s_waitcnt vmcnt(22)
	v_mul_f32_e32 v2, v13, v65
	v_mul_f32_e32 v3, v12, v65
	s_waitcnt vmcnt(20)
	v_mul_f32_e32 v4, v15, v71
	v_mul_f32_e32 v5, v14, v71
	v_fmac_f32_e32 v2, v12, v64
	v_fma_f32 v3, v13, v64, -v3
	v_fmac_f32_e32 v4, v14, v70
	v_fma_f32 v5, v15, v70, -v5
	ds_write2st64_b64 v1, v[2:3], v[4:5] offset0:32 offset1:40
	s_waitcnt vmcnt(18)
	v_mul_f32_e32 v2, v17, v69
	v_mul_f32_e32 v3, v16, v69
	s_waitcnt vmcnt(16)
	v_mul_f32_e32 v4, v19, v73
	v_mul_f32_e32 v5, v18, v73
	v_fmac_f32_e32 v2, v16, v68
	v_fma_f32 v3, v17, v68, -v3
	;; [unrolled: 11-line block ×6, first 2 shown]
	v_fmac_f32_e32 v4, v34, v88
	v_fma_f32 v5, v35, v88, -v5
	ds_write2st64_b64 v1, v[2:3], v[4:5] offset0:112 offset1:120
	s_waitcnt lgkmcnt(0)
	s_barrier
	ds_read2st64_b64 v[2:5], v1 offset1:8
	ds_read2st64_b64 v[6:9], v1 offset0:16 offset1:24
	ds_read2st64_b64 v[10:13], v1 offset0:32 offset1:40
	;; [unrolled: 1-line block ×7, first 2 shown]
	s_waitcnt lgkmcnt(4)
	v_pk_add_f32 v[14:15], v[2:3], v[14:15] neg_lo:[0,1] neg_hi:[0,1]
	v_pk_add_f32 v[16:17], v[4:5], v[16:17] neg_lo:[0,1] neg_hi:[0,1]
	s_waitcnt lgkmcnt(2)
	v_pk_add_f32 v[22:23], v[10:11], v[22:23] neg_lo:[0,1] neg_hi:[0,1]
	s_waitcnt lgkmcnt(1)
	;; [unrolled: 2-line block ×3, first 2 shown]
	v_pk_add_f32 v[30:31], v[18:19], v[30:31] neg_lo:[0,1] neg_hi:[0,1]
	v_pk_add_f32 v[24:25], v[12:13], v[24:25] neg_lo:[0,1] neg_hi:[0,1]
	;; [unrolled: 1-line block ×4, first 2 shown]
	v_pk_fma_f32 v[2:3], v[2:3], 2.0, v[14:15] op_sel_hi:[1,0,1] neg_lo:[0,0,1] neg_hi:[0,0,1]
	v_pk_fma_f32 v[10:11], v[10:11], 2.0, v[22:23] op_sel_hi:[1,0,1] neg_lo:[0,0,1] neg_hi:[0,0,1]
	;; [unrolled: 1-line block ×8, first 2 shown]
	v_pk_add_f32 v[10:11], v[2:3], v[10:11] neg_lo:[0,1] neg_hi:[0,1]
	v_pk_add_f32 v[34:35], v[6:7], v[18:19] neg_lo:[0,1] neg_hi:[0,1]
	;; [unrolled: 1-line block ×4, first 2 shown]
	v_pk_fma_f32 v[2:3], v[2:3], 2.0, v[10:11] op_sel_hi:[1,0,1] neg_lo:[0,0,1] neg_hi:[0,0,1]
	v_pk_fma_f32 v[6:7], v[6:7], 2.0, v[34:35] op_sel_hi:[1,0,1] neg_lo:[0,0,1] neg_hi:[0,0,1]
	;; [unrolled: 1-line block ×4, first 2 shown]
	v_pk_add_f32 v[36:37], v[2:3], v[6:7] neg_lo:[0,1] neg_hi:[0,1]
	v_pk_add_f32 v[38:39], v[4:5], v[8:9] neg_lo:[0,1] neg_hi:[0,1]
	v_pk_fma_f32 v[6:7], v[2:3], 2.0, v[36:37] op_sel_hi:[1,0,1] neg_lo:[0,0,1] neg_hi:[0,0,1]
	v_pk_fma_f32 v[2:3], v[4:5], 2.0, v[38:39] op_sel_hi:[1,0,1] neg_lo:[0,0,1] neg_hi:[0,0,1]
	v_pk_add_f32 v[40:41], v[14:15], v[22:23] op_sel:[0,1] op_sel_hi:[1,0] neg_lo:[0,1] neg_hi:[0,1]
	v_pk_add_f32 v[4:5], v[14:15], v[22:23] op_sel:[0,1] op_sel_hi:[1,0]
	v_pk_add_f32 v[22:23], v[26:27], v[30:31] op_sel:[0,1] op_sel_hi:[1,0] neg_lo:[0,1] neg_hi:[0,1]
	v_pk_add_f32 v[8:9], v[26:27], v[30:31] op_sel:[0,1] op_sel_hi:[1,0]
	v_mov_b32_e32 v41, v5
	v_mov_b32_e32 v23, v9
	v_pk_fma_f32 v[4:5], v[14:15], 2.0, v[40:41] op_sel_hi:[1,0,1] neg_lo:[0,0,1] neg_hi:[0,0,1]
	v_pk_fma_f32 v[8:9], v[26:27], 2.0, v[22:23] op_sel_hi:[1,0,1] neg_lo:[0,0,1] neg_hi:[0,0,1]
	v_pk_add_f32 v[26:27], v[16:17], v[24:25] op_sel:[0,1] op_sel_hi:[1,0] neg_lo:[0,1] neg_hi:[0,1]
	v_pk_add_f32 v[14:15], v[16:17], v[24:25] op_sel:[0,1] op_sel_hi:[1,0]
	v_pk_add_f32 v[18:19], v[28:29], v[32:33] op_sel:[0,1] op_sel_hi:[1,0]
	v_mov_b32_e32 v27, v15
	v_pk_fma_f32 v[14:15], v[16:17], 2.0, v[26:27] op_sel_hi:[1,0,1] neg_lo:[0,0,1] neg_hi:[0,0,1]
	v_pk_add_f32 v[16:17], v[28:29], v[32:33] op_sel:[0,1] op_sel_hi:[1,0] neg_lo:[0,1] neg_hi:[0,1]
	v_pk_mul_f32 v[24:25], v[8:9], s[2:3] op_sel_hi:[1,0]
	v_mov_b32_e32 v17, v19
	v_pk_fma_f32 v[8:9], v[8:9], s[2:3], v[4:5] op_sel_hi:[1,0,1] neg_lo:[1,0,0] neg_hi:[1,0,0]
	v_pk_fma_f32 v[18:19], v[28:29], 2.0, v[16:17] op_sel_hi:[1,0,1] neg_lo:[0,0,1] neg_hi:[0,0,1]
	v_pk_add_f32 v[28:29], v[8:9], v[24:25] op_sel:[0,1] op_sel_hi:[1,0] neg_lo:[0,1] neg_hi:[0,1]
	v_pk_add_f32 v[24:25], v[8:9], v[24:25] op_sel:[0,1] op_sel_hi:[1,0]
	v_pk_add_f32 v[2:3], v[6:7], v[2:3] neg_lo:[0,1] neg_hi:[0,1]
	v_mov_b32_e32 v29, v25
	v_pk_fma_f32 v[8:9], v[4:5], 2.0, v[28:29] op_sel_hi:[1,0,1] neg_lo:[0,0,1] neg_hi:[0,0,1]
	v_pk_mul_f32 v[4:5], v[18:19], s[2:3] op_sel_hi:[1,0]
	v_pk_fma_f32 v[18:19], v[18:19], s[2:3], v[14:15] op_sel_hi:[1,0,1] neg_lo:[1,0,0] neg_hi:[1,0,0]
	v_pk_fma_f32 v[6:7], v[6:7], 2.0, v[2:3] op_sel_hi:[1,0,1] neg_lo:[0,0,1] neg_hi:[0,0,1]
	v_pk_add_f32 v[30:31], v[18:19], v[4:5] op_sel:[0,1] op_sel_hi:[1,0] neg_lo:[0,1] neg_hi:[0,1]
	v_pk_add_f32 v[18:19], v[18:19], v[4:5] op_sel:[0,1] op_sel_hi:[1,0]
	s_nop 0
	v_mov_b32_e32 v31, v19
	v_pk_fma_f32 v[4:5], v[14:15], 2.0, v[30:31] op_sel_hi:[1,0,1] neg_lo:[0,0,1] neg_hi:[0,0,1]
	s_barrier
	v_pk_fma_f32 v[14:15], v[4:5], s[8:9], v[8:9] op_sel_hi:[1,0,1] neg_lo:[1,0,0] neg_hi:[1,0,0]
	v_pk_mul_f32 v[32:33], v[4:5], s[12:13] op_sel_hi:[1,0]
	s_nop 0
	v_pk_add_f32 v[4:5], v[14:15], v[32:33] op_sel:[0,1] op_sel_hi:[1,0] neg_lo:[0,1] neg_hi:[0,1]
	v_pk_add_f32 v[14:15], v[14:15], v[32:33] op_sel:[0,1] op_sel_hi:[1,0]
	v_pk_add_f32 v[32:33], v[10:11], v[34:35] op_sel:[0,1] op_sel_hi:[1,0]
	v_fmamk_f32 v14, v30, 0x3ec3ef15, v28
	v_fmac_f32_e32 v14, 0xbf6c835e, v19
	v_mov_b32_e32 v5, v15
	v_fma_f32 v18, v28, 2.0, -v14
	v_pk_add_f32 v[28:29], v[10:11], v[34:35] op_sel:[0,1] op_sel_hi:[1,0] neg_lo:[0,1] neg_hi:[0,1]
	v_pk_add_f32 v[34:35], v[12:13], v[20:21] op_sel:[0,1] op_sel_hi:[1,0] neg_lo:[0,1] neg_hi:[0,1]
	v_pk_add_f32 v[20:21], v[12:13], v[20:21] op_sel:[0,1] op_sel_hi:[1,0]
	v_pk_fma_f32 v[8:9], v[8:9], 2.0, v[4:5] op_sel_hi:[1,0,1] neg_lo:[0,0,1] neg_hi:[0,0,1]
	v_mov_b32_e32 v29, v33
	v_mov_b32_e32 v35, v21
	ds_write_b128 v91, v[6:9]
	v_pk_fma_f32 v[8:9], v[10:11], 2.0, v[28:29] op_sel_hi:[1,0,1] neg_lo:[0,0,1] neg_hi:[0,0,1]
	v_pk_fma_f32 v[6:7], v[12:13], 2.0, v[34:35] op_sel_hi:[1,0,1] neg_lo:[0,0,1] neg_hi:[0,0,1]
	v_mov_b32_e32 v24, v25
	v_pk_mul_f32 v[10:11], v[6:7], s[2:3] op_sel_hi:[1,0]
	v_pk_fma_f32 v[12:13], v[6:7], s[2:3], v[8:9] op_sel_hi:[1,0,1] neg_lo:[1,0,0] neg_hi:[1,0,0]
	v_mov_b32_e32 v25, v28
	v_pk_add_f32 v[6:7], v[12:13], v[10:11] op_sel:[0,1] op_sel_hi:[1,0] neg_lo:[0,1] neg_hi:[0,1]
	v_pk_add_f32 v[42:43], v[12:13], v[10:11] op_sel:[0,1] op_sel_hi:[1,0]
	v_pk_fma_f32 v[12:13], v[22:23], s[2:3], v[40:41] op_sel_hi:[1,0,1]
	v_mov_b32_e32 v7, v43
	v_pk_fma_f32 v[10:11], v[8:9], 2.0, v[6:7] op_sel_hi:[1,0,1] neg_lo:[0,0,1] neg_hi:[0,0,1]
	v_pk_mul_f32 v[8:9], v[22:23], s[2:3] op_sel_hi:[1,0]
	v_mov_b32_e32 v31, v21
	v_pk_add_f32 v[22:23], v[12:13], v[8:9] op_sel:[0,1] op_sel_hi:[1,0] neg_lo:[0,1] neg_hi:[0,1]
	v_pk_add_f32 v[44:45], v[12:13], v[8:9] op_sel:[0,1] op_sel_hi:[1,0]
	v_pk_mul_f32 v[8:9], v[16:17], s[2:3] op_sel_hi:[1,0]
	v_mov_b32_e32 v23, v45
	v_pk_fma_f32 v[16:17], v[16:17], s[2:3], v[26:27] op_sel_hi:[1,0,1]
	v_pk_fma_f32 v[12:13], v[40:41], 2.0, v[22:23] op_sel_hi:[1,0,1] neg_lo:[0,0,1] neg_hi:[0,0,1]
	v_pk_add_f32 v[40:41], v[16:17], v[8:9] op_sel:[0,1] op_sel_hi:[1,0] neg_lo:[0,1] neg_hi:[0,1]
	v_pk_add_f32 v[16:17], v[16:17], v[8:9] op_sel:[0,1] op_sel_hi:[1,0]
	v_fmamk_f32 v29, v40, 0x3f6c835e, v22
	v_mov_b32_e32 v41, v17
	v_pk_fma_f32 v[8:9], v[26:27], 2.0, v[40:41] op_sel_hi:[1,0,1] neg_lo:[0,0,1] neg_hi:[0,0,1]
	v_fmamk_f32 v23, v17, 0x3f6c835e, v45
	v_pk_fma_f32 v[26:27], v[8:9], s[12:13], v[12:13] op_sel_hi:[1,0,1] neg_lo:[1,0,0] neg_hi:[1,0,0]
	v_pk_mul_f32 v[46:47], v[8:9], s[8:9] op_sel_hi:[1,0]
	v_fmac_f32_e32 v29, 0xbec3ef15, v17
	v_pk_add_f32 v[8:9], v[26:27], v[46:47] op_sel:[0,1] op_sel_hi:[1,0] neg_lo:[0,1] neg_hi:[0,1]
	v_pk_add_f32 v[26:27], v[26:27], v[46:47] op_sel:[0,1] op_sel_hi:[1,0]
	s_mov_b32 s13, s2
	v_mov_b32_e32 v9, v27
	v_pk_fma_f32 v[12:13], v[12:13], 2.0, v[8:9] op_sel_hi:[1,0,1] neg_lo:[0,0,1] neg_hi:[0,0,1]
	ds_write_b128 v91, v[10:13] offset:16
	v_pk_add_f32 v[12:13], v[36:37], v[38:39] op_sel:[0,1] op_sel_hi:[1,0] neg_lo:[0,1] neg_hi:[0,1]
	v_pk_add_f32 v[10:11], v[36:37], v[38:39] op_sel:[0,1] op_sel_hi:[1,0]
	s_mov_b32 s9, s2
	v_mov_b32_e32 v13, v11
	v_pk_fma_f32 v[16:17], v[36:37], 2.0, v[12:13] op_sel_hi:[1,0,1] neg_lo:[0,0,1] neg_hi:[0,0,1]
	ds_write_b96 v91, v[16:18] offset:32
	v_mov_b32_e32 v16, v19
	v_mov_b32_e32 v17, v34
	v_pk_mul_f32 v[18:19], v[16:17], s[12:13]
	v_pk_fma_f32 v[16:17], v[16:17], s[12:13], v[24:25]
	v_pk_mul_f32 v[20:21], v[20:21], s[8:9]
	v_pk_fma_f32 v[34:35], v[30:31], s[8:9], v[16:17]
	v_pk_fma_f32 v[16:17], v[30:31], s[8:9], v[16:17] neg_lo:[1,0,0] neg_hi:[1,0,0]
	v_add_f32_e32 v5, v33, v21
	v_mov_b32_e32 v35, v17
	v_pk_fma_f32 v[16:17], v[24:25], 2.0, v[34:35] op_sel_hi:[1,0,1] neg_lo:[0,0,1] neg_hi:[0,0,1]
	v_add_f32_e32 v28, v5, v19
	ds_write2_b32 v91, v16, v17 offset0:11 offset1:12
	v_mov_b32_e32 v16, v33
	v_mov_b32_e32 v17, v22
	v_fmac_f32_e32 v23, 0x3ec3ef15, v40
	v_pk_fma_f32 v[16:17], v[16:17], 2.0, v[28:29] op_sel_hi:[1,0,1] neg_lo:[0,0,1] neg_hi:[0,0,1]
	v_mov_b32_e32 v5, v15
	v_fma_f32 v26, v45, 2.0, -v23
	ds_write2_b32 v91, v16, v17 offset0:13 offset1:14
	ds_write_b128 v91, v[2:5] offset:64
	ds_write_b128 v91, v[6:9] offset:80
	ds_write_b96 v91, v[12:14] offset:96
	ds_write2_b32 v91, v34, v35 offset0:27 offset1:28
	ds_write2_b32 v91, v28, v29 offset0:29 offset1:30
	;; [unrolled: 1-line block ×3, first 2 shown]
	v_and_b32_e32 v8, 15, v0
	v_mad_u64_u32 v[6:7], s[16:17], v8, 24, s[10:11]
	s_waitcnt lgkmcnt(0)
	s_barrier
	global_load_dwordx4 v[2:5], v[6:7], off
	global_load_dwordx2 v[92:93], v[6:7], off offset:16
	v_lshlrev_b32_e32 v6, 2, v0
	s_movk_i32 s3, 0x7c0
	v_and_or_b32 v6, v6, s3, v8
	v_lshlrev_b32_e32 v107, 3, v6
	v_lshlrev_b32_e32 v6, 2, v48
	s_movk_i32 s3, 0xfc0
	v_and_or_b32 v6, v6, s3, v8
	v_lshlrev_b32_e32 v105, 3, v6
	;; [unrolled: 4-line block ×3, first 2 shown]
	v_lshlrev_b32_e32 v6, 2, v50
	s_movk_i32 s3, 0x1fc0
	v_and_or_b32 v10, v6, s3, v8
	ds_read2st64_b64 v[6:9], v1 offset0:48 offset1:56
	v_lshlrev_b32_e32 v97, 3, v10
	ds_read2st64_b64 v[10:13], v1 offset0:16 offset1:24
	ds_read2st64_b64 v[14:17], v1 offset0:80 offset1:88
	;; [unrolled: 1-line block ×3, first 2 shown]
	v_mov_b64_e32 v[22:23], s[10:11]
	s_movk_i32 s3, 0x78
	s_waitcnt vmcnt(1) lgkmcnt(3)
	v_pk_mul_f32 v[24:25], v[8:9], v[2:3] op_sel:[0,1]
	s_nop 0
	v_pk_fma_f32 v[26:27], v[8:9], v[2:3], v[24:25] op_sel:[0,0,1] op_sel_hi:[1,1,0] neg_lo:[0,0,1] neg_hi:[0,0,1]
	v_pk_fma_f32 v[8:9], v[8:9], v[2:3], v[24:25] op_sel:[0,0,1] op_sel_hi:[1,0,0]
	v_mov_b32_e32 v96, v5
	v_mov_b32_e32 v27, v9
	s_waitcnt lgkmcnt(1)
	v_pk_mul_f32 v[8:9], v[16:17], v[96:97] op_sel_hi:[1,0]
	s_nop 0
	v_pk_fma_f32 v[24:25], v[16:17], v[4:5], v[8:9] op_sel:[0,0,1] op_sel_hi:[1,1,0] neg_lo:[0,0,1] neg_hi:[0,0,1]
	v_pk_fma_f32 v[8:9], v[16:17], v[4:5], v[8:9] op_sel:[0,0,1] op_sel_hi:[1,0,0]
	s_nop 0
	v_mov_b32_e32 v25, v9
	s_waitcnt vmcnt(0) lgkmcnt(0)
	v_pk_mul_f32 v[8:9], v[20:21], v[92:93] op_sel:[0,1]
	v_pk_add_f32 v[24:25], v[12:13], v[24:25] neg_lo:[0,1] neg_hi:[0,1]
	v_pk_fma_f32 v[16:17], v[20:21], v[92:93], v[8:9] op_sel:[0,0,1] op_sel_hi:[1,1,0] neg_lo:[0,0,1] neg_hi:[0,0,1]
	v_pk_fma_f32 v[8:9], v[20:21], v[92:93], v[8:9] op_sel:[0,0,1] op_sel_hi:[1,0,0]
	s_nop 0
	v_mov_b32_e32 v17, v9
	v_pk_add_f32 v[28:29], v[26:27], v[16:17] neg_lo:[0,1] neg_hi:[0,1]
	v_pk_fma_f32 v[8:9], v[12:13], 2.0, v[24:25] op_sel_hi:[1,0,1] neg_lo:[0,0,1] neg_hi:[0,0,1]
	v_pk_fma_f32 v[12:13], v[26:27], 2.0, v[28:29] op_sel_hi:[1,0,1] neg_lo:[0,0,1] neg_hi:[0,0,1]
	s_nop 0
	v_pk_add_f32 v[26:27], v[8:9], v[12:13] neg_lo:[0,1] neg_hi:[0,1]
	s_nop 0
	v_pk_fma_f32 v[30:31], v[8:9], 2.0, v[26:27] op_sel_hi:[1,0,1] neg_lo:[0,0,1] neg_hi:[0,0,1]
	v_pk_mul_f32 v[8:9], v[6:7], v[2:3] op_sel:[0,1]
	s_nop 0
	v_pk_fma_f32 v[12:13], v[6:7], v[2:3], v[8:9] op_sel:[0,0,1] op_sel_hi:[1,1,0] neg_lo:[0,0,1] neg_hi:[0,0,1]
	v_pk_fma_f32 v[6:7], v[6:7], v[2:3], v[8:9] op_sel:[0,0,1] op_sel_hi:[1,0,0]
	s_nop 0
	v_mov_b32_e32 v13, v7
	v_pk_mul_f32 v[6:7], v[14:15], v[96:97] op_sel_hi:[1,0]
	s_nop 0
	v_pk_fma_f32 v[8:9], v[14:15], v[4:5], v[6:7] op_sel:[0,0,1] op_sel_hi:[1,1,0] neg_lo:[0,0,1] neg_hi:[0,0,1]
	v_pk_fma_f32 v[6:7], v[14:15], v[4:5], v[6:7] op_sel:[0,0,1] op_sel_hi:[1,0,0]
	s_nop 0
	v_mov_b32_e32 v9, v7
	v_pk_mul_f32 v[6:7], v[18:19], v[92:93] op_sel:[0,1]
	v_pk_add_f32 v[32:33], v[10:11], v[8:9] neg_lo:[0,1] neg_hi:[0,1]
	v_pk_fma_f32 v[14:15], v[18:19], v[92:93], v[6:7] op_sel:[0,0,1] op_sel_hi:[1,1,0] neg_lo:[0,0,1] neg_hi:[0,0,1]
	v_pk_fma_f32 v[6:7], v[18:19], v[92:93], v[6:7] op_sel:[0,0,1] op_sel_hi:[1,0,0]
	v_pk_fma_f32 v[10:11], v[10:11], 2.0, v[32:33] op_sel_hi:[1,0,1] neg_lo:[0,0,1] neg_hi:[0,0,1]
	v_mov_b32_e32 v15, v7
	v_pk_add_f32 v[34:35], v[12:13], v[14:15] neg_lo:[0,1] neg_hi:[0,1]
	s_nop 0
	v_pk_fma_f32 v[6:7], v[12:13], 2.0, v[34:35] op_sel_hi:[1,0,1] neg_lo:[0,0,1] neg_hi:[0,0,1]
	s_nop 0
	v_pk_add_f32 v[36:37], v[10:11], v[6:7] neg_lo:[0,1] neg_hi:[0,1]
	ds_read2st64_b64 v[6:9], v1 offset0:32 offset1:40
	v_pk_fma_f32 v[38:39], v[10:11], 2.0, v[36:37] op_sel_hi:[1,0,1] neg_lo:[0,0,1] neg_hi:[0,0,1]
	ds_read2st64_b64 v[10:13], v1 offset1:8
	ds_read2st64_b64 v[14:17], v1 offset0:64 offset1:72
	ds_read2st64_b64 v[18:21], v1 offset0:96 offset1:104
	s_waitcnt lgkmcnt(0)
	s_barrier
	v_pk_mul_f32 v[40:41], v[8:9], v[2:3] op_sel:[0,1]
	s_nop 0
	v_pk_fma_f32 v[42:43], v[8:9], v[2:3], v[40:41] op_sel:[0,0,1] op_sel_hi:[1,1,0] neg_lo:[0,0,1] neg_hi:[0,0,1]
	v_pk_fma_f32 v[8:9], v[8:9], v[2:3], v[40:41] op_sel:[0,0,1] op_sel_hi:[1,0,0]
	s_nop 0
	v_mov_b32_e32 v43, v9
	v_pk_mul_f32 v[8:9], v[16:17], v[96:97] op_sel_hi:[1,0]
	s_nop 0
	v_pk_fma_f32 v[40:41], v[16:17], v[4:5], v[8:9] op_sel:[0,0,1] op_sel_hi:[1,1,0] neg_lo:[0,0,1] neg_hi:[0,0,1]
	v_pk_fma_f32 v[8:9], v[16:17], v[4:5], v[8:9] op_sel:[0,0,1] op_sel_hi:[1,0,0]
	s_nop 0
	v_mov_b32_e32 v41, v9
	v_pk_mul_f32 v[8:9], v[20:21], v[92:93] op_sel:[0,1]
	s_nop 0
	v_pk_fma_f32 v[16:17], v[20:21], v[92:93], v[8:9] op_sel:[0,0,1] op_sel_hi:[1,1,0] neg_lo:[0,0,1] neg_hi:[0,0,1]
	v_pk_fma_f32 v[8:9], v[20:21], v[92:93], v[8:9] op_sel:[0,0,1] op_sel_hi:[1,0,0]
	s_nop 0
	v_mov_b32_e32 v17, v9
	v_pk_add_f32 v[8:9], v[12:13], v[40:41] neg_lo:[0,1] neg_hi:[0,1]
	v_pk_add_f32 v[16:17], v[42:43], v[16:17] neg_lo:[0,1] neg_hi:[0,1]
	v_pk_mul_f32 v[40:41], v[6:7], v[2:3] op_sel:[0,1]
	v_pk_fma_f32 v[20:21], v[42:43], 2.0, v[16:17] op_sel_hi:[1,0,1] neg_lo:[0,0,1] neg_hi:[0,0,1]
	v_pk_fma_f32 v[42:43], v[6:7], v[2:3], v[40:41] op_sel:[0,0,1] op_sel_hi:[1,1,0] neg_lo:[0,0,1] neg_hi:[0,0,1]
	v_pk_fma_f32 v[6:7], v[6:7], v[2:3], v[40:41] op_sel:[0,0,1] op_sel_hi:[1,0,0]
	v_pk_fma_f32 v[12:13], v[12:13], 2.0, v[8:9] op_sel_hi:[1,0,1] neg_lo:[0,0,1] neg_hi:[0,0,1]
	v_mov_b32_e32 v43, v7
	v_pk_mul_f32 v[6:7], v[14:15], v[96:97] op_sel_hi:[1,0]
	v_pk_add_f32 v[20:21], v[12:13], v[20:21] neg_lo:[0,1] neg_hi:[0,1]
	v_pk_fma_f32 v[40:41], v[14:15], v[4:5], v[6:7] op_sel:[0,0,1] op_sel_hi:[1,1,0] neg_lo:[0,0,1] neg_hi:[0,0,1]
	v_pk_fma_f32 v[6:7], v[14:15], v[4:5], v[6:7] op_sel:[0,0,1] op_sel_hi:[1,0,0]
	v_pk_fma_f32 v[12:13], v[12:13], 2.0, v[20:21] op_sel_hi:[1,0,1] neg_lo:[0,0,1] neg_hi:[0,0,1]
	v_mov_b32_e32 v41, v7
	v_pk_mul_f32 v[6:7], v[18:19], v[92:93] op_sel:[0,1]
	s_nop 0
	v_pk_fma_f32 v[14:15], v[18:19], v[92:93], v[6:7] op_sel:[0,0,1] op_sel_hi:[1,1,0] neg_lo:[0,0,1] neg_hi:[0,0,1]
	v_pk_fma_f32 v[6:7], v[18:19], v[92:93], v[6:7] op_sel:[0,0,1] op_sel_hi:[1,0,0]
	s_nop 0
	v_mov_b32_e32 v15, v7
	v_pk_add_f32 v[6:7], v[10:11], v[40:41] neg_lo:[0,1] neg_hi:[0,1]
	v_pk_add_f32 v[14:15], v[42:43], v[14:15] neg_lo:[0,1] neg_hi:[0,1]
	v_pk_fma_f32 v[10:11], v[10:11], 2.0, v[6:7] op_sel_hi:[1,0,1] neg_lo:[0,0,1] neg_hi:[0,0,1]
	v_pk_fma_f32 v[18:19], v[42:43], 2.0, v[14:15] op_sel_hi:[1,0,1] neg_lo:[0,0,1] neg_hi:[0,0,1]
	v_pk_add_f32 v[40:41], v[6:7], v[14:15] op_sel:[0,1] op_sel_hi:[1,0] neg_lo:[0,1] neg_hi:[0,1]
	v_pk_add_f32 v[14:15], v[6:7], v[14:15] op_sel:[0,1] op_sel_hi:[1,0]
	v_pk_add_f32 v[18:19], v[10:11], v[18:19] neg_lo:[0,1] neg_hi:[0,1]
	v_mov_b32_e32 v41, v15
	v_pk_fma_f32 v[10:11], v[10:11], 2.0, v[18:19] op_sel_hi:[1,0,1] neg_lo:[0,0,1] neg_hi:[0,0,1]
	v_pk_fma_f32 v[6:7], v[6:7], 2.0, v[40:41] op_sel_hi:[1,0,1] neg_lo:[0,0,1] neg_hi:[0,0,1]
	ds_write2_b64 v107, v[10:11], v[6:7] offset1:16
	ds_write2_b64 v107, v[18:19], v[40:41] offset0:32 offset1:48
	v_pk_add_f32 v[6:7], v[8:9], v[16:17] op_sel:[0,1] op_sel_hi:[1,0] neg_lo:[0,1] neg_hi:[0,1]
	v_pk_add_f32 v[10:11], v[8:9], v[16:17] op_sel:[0,1] op_sel_hi:[1,0]
	s_nop 0
	v_mov_b32_e32 v7, v11
	v_pk_fma_f32 v[8:9], v[8:9], 2.0, v[6:7] op_sel_hi:[1,0,1] neg_lo:[0,0,1] neg_hi:[0,0,1]
	ds_write2_b64 v105, v[12:13], v[8:9] offset1:16
	ds_write2_b64 v105, v[20:21], v[6:7] offset0:32 offset1:48
	v_pk_add_f32 v[6:7], v[32:33], v[34:35] op_sel:[0,1] op_sel_hi:[1,0] neg_lo:[0,1] neg_hi:[0,1]
	v_pk_add_f32 v[8:9], v[32:33], v[34:35] op_sel:[0,1] op_sel_hi:[1,0]
	v_mad_u64_u32 v[10:11], s[16:17], v102, s3, v[22:23]
	v_mov_b32_e32 v7, v9
	v_pk_fma_f32 v[8:9], v[32:33], 2.0, v[6:7] op_sel_hi:[1,0,1] neg_lo:[0,0,1] neg_hi:[0,0,1]
	ds_write2_b64 v103, v[38:39], v[8:9] offset1:16
	ds_write2_b64 v103, v[36:37], v[6:7] offset0:32 offset1:48
	v_pk_add_f32 v[6:7], v[24:25], v[28:29] op_sel:[0,1] op_sel_hi:[1,0] neg_lo:[0,1] neg_hi:[0,1]
	v_pk_add_f32 v[8:9], v[24:25], v[28:29] op_sel:[0,1] op_sel_hi:[1,0]
	s_nop 0
	v_mov_b32_e32 v7, v9
	v_pk_fma_f32 v[8:9], v[24:25], 2.0, v[6:7] op_sel_hi:[1,0,1] neg_lo:[0,0,1] neg_hi:[0,0,1]
	ds_write2_b64 v97, v[30:31], v[8:9] offset1:16
	ds_write2_b64 v97, v[26:27], v[6:7] offset0:32 offset1:48
	s_waitcnt lgkmcnt(0)
	s_barrier
	global_load_dwordx4 v[30:33], v[10:11], off offset:384
	global_load_dwordx4 v[26:29], v[10:11], off offset:400
	;; [unrolled: 1-line block ×7, first 2 shown]
	global_load_dwordx2 v[94:95], v[10:11], off offset:496
	ds_read2st64_b64 v[10:13], v1 offset0:16 offset1:24
	ds_read2st64_b64 v[18:21], v1 offset0:32 offset1:40
	;; [unrolled: 1-line block ×4, first 2 shown]
	s_waitcnt vmcnt(7)
	v_mov_b32_e32 v120, v33
	s_waitcnt lgkmcnt(3)
	v_pk_mul_f32 v[50:51], v[10:11], v[120:121] op_sel_hi:[1,0]
	s_waitcnt vmcnt(6)
	v_mov_b32_e32 v118, v29
	v_pk_fma_f32 v[52:53], v[10:11], v[32:33], v[50:51] op_sel:[0,0,1] op_sel_hi:[1,1,0] neg_lo:[0,0,1] neg_hi:[0,0,1]
	v_pk_fma_f32 v[50:51], v[10:11], v[32:33], v[50:51] op_sel:[0,0,1] op_sel_hi:[1,0,0]
	v_pk_mul_f32 v[10:11], v[12:13], v[26:27] op_sel:[0,1]
	s_waitcnt vmcnt(5)
	v_mov_b32_e32 v114, v25
	v_pk_fma_f32 v[54:55], v[12:13], v[26:27], v[10:11] op_sel:[0,0,1] op_sel_hi:[1,1,0] neg_lo:[0,0,1] neg_hi:[0,0,1]
	v_pk_fma_f32 v[56:57], v[12:13], v[26:27], v[10:11] op_sel:[0,0,1] op_sel_hi:[1,0,0]
	s_waitcnt lgkmcnt(2)
	v_pk_mul_f32 v[10:11], v[18:19], v[118:119] op_sel_hi:[1,0]
	s_waitcnt vmcnt(4)
	v_mov_b32_e32 v110, v17
	v_pk_fma_f32 v[100:101], v[18:19], v[28:29], v[10:11] op_sel:[0,0,1] op_sel_hi:[1,1,0] neg_lo:[0,0,1] neg_hi:[0,0,1]
	v_pk_fma_f32 v[98:99], v[18:19], v[28:29], v[10:11] op_sel:[0,0,1] op_sel_hi:[1,0,0]
	v_pk_mul_f32 v[10:11], v[20:21], v[22:23] op_sel:[0,1]
	s_waitcnt vmcnt(3) lgkmcnt(0)
	v_pk_mul_f32 v[18:19], v[48:49], v[38:39] op_sel:[0,1]
	v_pk_fma_f32 v[112:113], v[20:21], v[22:23], v[10:11] op_sel:[0,0,1] op_sel_hi:[1,1,0] neg_lo:[0,0,1] neg_hi:[0,0,1]
	v_pk_fma_f32 v[134:135], v[20:21], v[22:23], v[10:11] op_sel:[0,0,1] op_sel_hi:[1,0,0]
	v_pk_mul_f32 v[10:11], v[42:43], v[114:115] op_sel_hi:[1,0]
	v_mov_b32_e32 v108, v41
	v_pk_fma_f32 v[136:137], v[42:43], v[24:25], v[10:11] op_sel:[0,0,1] op_sel_hi:[1,1,0] neg_lo:[0,0,1] neg_hi:[0,0,1]
	v_pk_fma_f32 v[42:43], v[42:43], v[24:25], v[10:11] op_sel:[0,0,1] op_sel_hi:[1,0,0]
	v_pk_mul_f32 v[10:11], v[44:45], v[14:15] op_sel:[0,1]
	v_pk_fma_f32 v[142:143], v[48:49], v[38:39], v[18:19] op_sel:[0,0,1] op_sel_hi:[1,1,0] neg_lo:[0,0,1] neg_hi:[0,0,1]
	v_pk_fma_f32 v[138:139], v[44:45], v[14:15], v[10:11] op_sel:[0,0,1] op_sel_hi:[1,1,0] neg_lo:[0,0,1] neg_hi:[0,0,1]
	v_pk_fma_f32 v[44:45], v[44:45], v[14:15], v[10:11] op_sel:[0,0,1] op_sel_hi:[1,0,0]
	v_pk_mul_f32 v[10:11], v[46:47], v[110:111] op_sel_hi:[1,0]
	v_pk_fma_f32 v[48:49], v[48:49], v[38:39], v[18:19] op_sel:[0,0,1] op_sel_hi:[1,0,0]
	v_pk_fma_f32 v[140:141], v[46:47], v[16:17], v[10:11] op_sel:[0,0,1] op_sel_hi:[1,1,0] neg_lo:[0,0,1] neg_hi:[0,0,1]
	v_pk_fma_f32 v[46:47], v[46:47], v[16:17], v[10:11] op_sel:[0,0,1] op_sel_hi:[1,0,0]
	ds_read2st64_b64 v[10:13], v1 offset0:80 offset1:88
	s_waitcnt vmcnt(2)
	v_mov_b32_e32 v104, v37
	s_waitcnt vmcnt(1)
	v_mov_b32_e32 v98, v9
	v_mov_b32_e32 v101, v99
	;; [unrolled: 1-line block ×3, first 2 shown]
	s_waitcnt lgkmcnt(0)
	v_pk_mul_f32 v[18:19], v[10:11], v[108:109] op_sel_hi:[1,0]
	v_mov_b32_e32 v53, v51
	v_pk_fma_f32 v[144:145], v[10:11], v[40:41], v[18:19] op_sel:[0,0,1] op_sel_hi:[1,1,0] neg_lo:[0,0,1] neg_hi:[0,0,1]
	v_pk_fma_f32 v[146:147], v[10:11], v[40:41], v[18:19] op_sel:[0,0,1] op_sel_hi:[1,0,0]
	ds_read2st64_b64 v[18:21], v1 offset0:96 offset1:104
	v_pk_mul_f32 v[10:11], v[12:13], v[34:35] op_sel:[0,1]
	v_mov_b32_e32 v137, v43
	v_pk_fma_f32 v[148:149], v[12:13], v[34:35], v[10:11] op_sel:[0,0,1] op_sel_hi:[1,1,0] neg_lo:[0,0,1] neg_hi:[0,0,1]
	v_pk_fma_f32 v[150:151], v[12:13], v[34:35], v[10:11] op_sel:[0,0,1] op_sel_hi:[1,0,0]
	s_waitcnt lgkmcnt(0)
	v_pk_mul_f32 v[10:11], v[18:19], v[104:105] op_sel_hi:[1,0]
	v_pk_mul_f32 v[154:155], v[20:21], v[6:7] op_sel:[0,1]
	v_pk_fma_f32 v[152:153], v[18:19], v[36:37], v[10:11] op_sel:[0,0,1] op_sel_hi:[1,1,0] neg_lo:[0,0,1] neg_hi:[0,0,1]
	v_pk_fma_f32 v[18:19], v[18:19], v[36:37], v[10:11] op_sel:[0,0,1] op_sel_hi:[1,0,0]
	ds_read2st64_b64 v[10:13], v1 offset0:112 offset1:120
	v_pk_fma_f32 v[156:157], v[20:21], v[6:7], v[154:155] op_sel:[0,0,1] op_sel_hi:[1,1,0] neg_lo:[0,0,1] neg_hi:[0,0,1]
	v_pk_fma_f32 v[20:21], v[20:21], v[6:7], v[154:155] op_sel:[0,0,1] op_sel_hi:[1,0,0]
	v_mov_b32_e32 v153, v19
	v_pk_add_f32 v[18:19], v[100:101], v[152:153] neg_lo:[0,1] neg_hi:[0,1]
	s_waitcnt lgkmcnt(0)
	v_pk_mul_f32 v[154:155], v[10:11], v[98:99] op_sel_hi:[1,0]
	v_mov_b32_e32 v145, v147
	v_pk_fma_f32 v[158:159], v[10:11], v[8:9], v[154:155] op_sel:[0,0,1] op_sel_hi:[1,1,0] neg_lo:[0,0,1] neg_hi:[0,0,1]
	v_pk_fma_f32 v[154:155], v[10:11], v[8:9], v[154:155] op_sel:[0,0,1] op_sel_hi:[1,0,0]
	s_waitcnt vmcnt(0)
	v_pk_mul_f32 v[10:11], v[12:13], v[94:95] op_sel:[0,1]
	v_mov_b32_e32 v157, v21
	v_pk_fma_f32 v[160:161], v[12:13], v[94:95], v[10:11] op_sel:[0,0,1] op_sel_hi:[1,1,0] neg_lo:[0,0,1] neg_hi:[0,0,1]
	v_pk_fma_f32 v[162:163], v[12:13], v[94:95], v[10:11] op_sel:[0,0,1] op_sel_hi:[1,0,0]
	ds_read2st64_b64 v[10:13], v1 offset1:8
	v_mov_b32_e32 v159, v155
	v_pk_fma_f32 v[20:21], v[100:101], 2.0, v[18:19] op_sel_hi:[1,0,1] neg_lo:[0,0,1] neg_hi:[0,0,1]
	v_mov_b32_e32 v139, v45
	v_pk_add_f32 v[44:45], v[136:137], v[158:159] neg_lo:[0,1] neg_hi:[0,1]
	s_waitcnt lgkmcnt(0)
	v_pk_mul_f32 v[164:165], v[12:13], v[30:31] op_sel:[0,1]
	v_mov_b32_e32 v113, v135
	v_pk_fma_f32 v[166:167], v[12:13], v[30:31], v[164:165] op_sel:[0,0,1] op_sel_hi:[1,1,0] neg_lo:[0,0,1] neg_hi:[0,0,1]
	v_pk_fma_f32 v[12:13], v[12:13], v[30:31], v[164:165] op_sel:[0,0,1] op_sel_hi:[1,0,0]
	v_mov_b32_e32 v143, v49
	v_mov_b32_e32 v167, v13
	v_pk_add_f32 v[12:13], v[10:11], v[140:141] neg_lo:[0,1] neg_hi:[0,1]
	v_pk_fma_f32 v[46:47], v[136:137], 2.0, v[44:45] op_sel_hi:[1,0,1] neg_lo:[0,0,1] neg_hi:[0,0,1]
	v_pk_add_f32 v[42:43], v[12:13], v[18:19] op_sel:[0,1] op_sel_hi:[1,0] neg_lo:[0,1] neg_hi:[0,1]
	v_pk_add_f32 v[18:19], v[12:13], v[18:19] op_sel:[0,1] op_sel_hi:[1,0]
	v_pk_add_f32 v[50:51], v[112:113], v[156:157] neg_lo:[0,1] neg_hi:[0,1]
	v_mov_b32_e32 v43, v19
	v_pk_add_f32 v[18:19], v[52:53], v[144:145] neg_lo:[0,1] neg_hi:[0,1]
	v_mov_b32_e32 v55, v57
	v_pk_add_f32 v[48:49], v[18:19], v[44:45] op_sel:[0,1] op_sel_hi:[1,0] neg_lo:[0,1] neg_hi:[0,1]
	v_pk_add_f32 v[44:45], v[18:19], v[44:45] op_sel:[0,1] op_sel_hi:[1,0]
	v_mov_b32_e32 v149, v151
	v_mov_b32_e32 v49, v45
	v_pk_add_f32 v[44:45], v[166:167], v[142:143] neg_lo:[0,1] neg_hi:[0,1]
	v_mov_b32_e32 v161, v163
	v_pk_fma_f32 v[56:57], v[112:113], 2.0, v[50:51] op_sel_hi:[1,0,1] neg_lo:[0,0,1] neg_hi:[0,0,1]
	v_pk_add_f32 v[100:101], v[44:45], v[50:51] op_sel:[0,1] op_sel_hi:[1,0] neg_lo:[0,1] neg_hi:[0,1]
	v_pk_add_f32 v[50:51], v[44:45], v[50:51] op_sel:[0,1] op_sel_hi:[1,0]
	v_pk_add_f32 v[112:113], v[138:139], v[160:161] neg_lo:[0,1] neg_hi:[0,1]
	v_mov_b32_e32 v101, v51
	v_pk_add_f32 v[50:51], v[54:55], v[148:149] neg_lo:[0,1] neg_hi:[0,1]
	v_pk_fma_f32 v[10:11], v[10:11], 2.0, v[12:13] op_sel_hi:[1,0,1] neg_lo:[0,0,1] neg_hi:[0,0,1]
	v_pk_fma_f32 v[134:135], v[138:139], 2.0, v[112:113] op_sel_hi:[1,0,1] neg_lo:[0,0,1] neg_hi:[0,0,1]
	v_pk_add_f32 v[136:137], v[50:51], v[112:113] op_sel:[0,1] op_sel_hi:[1,0] neg_lo:[0,1] neg_hi:[0,1]
	v_pk_add_f32 v[112:113], v[50:51], v[112:113] op_sel:[0,1] op_sel_hi:[1,0]
	v_pk_fma_f32 v[52:53], v[52:53], 2.0, v[18:19] op_sel_hi:[1,0,1] neg_lo:[0,0,1] neg_hi:[0,0,1]
	v_pk_fma_f32 v[12:13], v[12:13], 2.0, v[42:43] op_sel_hi:[1,0,1] neg_lo:[0,0,1] neg_hi:[0,0,1]
	;; [unrolled: 1-line block ×3, first 2 shown]
	v_mov_b32_e32 v137, v113
	v_pk_mul_f32 v[112:113], v[18:19], s[2:3] op_sel_hi:[1,0]
	v_pk_fma_f32 v[18:19], v[18:19], s[2:3], v[12:13] op_sel_hi:[1,0,1] neg_lo:[1,0,0] neg_hi:[1,0,0]
	v_pk_fma_f32 v[54:55], v[54:55], 2.0, v[50:51] op_sel_hi:[1,0,1] neg_lo:[0,0,1] neg_hi:[0,0,1]
	v_pk_add_f32 v[138:139], v[18:19], v[112:113] op_sel:[0,1] op_sel_hi:[1,0] neg_lo:[0,1] neg_hi:[0,1]
	v_pk_add_f32 v[18:19], v[18:19], v[112:113] op_sel:[0,1] op_sel_hi:[1,0]
	v_pk_fma_f32 v[112:113], v[166:167], 2.0, v[44:45] op_sel_hi:[1,0,1] neg_lo:[0,0,1] neg_hi:[0,0,1]
	v_pk_fma_f32 v[44:45], v[44:45], 2.0, v[100:101] op_sel_hi:[1,0,1] neg_lo:[0,0,1] neg_hi:[0,0,1]
	;; [unrolled: 1-line block ×3, first 2 shown]
	v_mov_b32_e32 v139, v19
	v_pk_mul_f32 v[140:141], v[50:51], s[2:3] op_sel_hi:[1,0]
	v_pk_fma_f32 v[50:51], v[50:51], s[2:3], v[44:45] op_sel_hi:[1,0,1] neg_lo:[1,0,0] neg_hi:[1,0,0]
	v_pk_fma_f32 v[12:13], v[12:13], 2.0, v[138:139] op_sel_hi:[1,0,1] neg_lo:[0,0,1] neg_hi:[0,0,1]
	v_pk_add_f32 v[142:143], v[50:51], v[140:141] op_sel:[0,1] op_sel_hi:[1,0] neg_lo:[0,1] neg_hi:[0,1]
	v_pk_add_f32 v[50:51], v[50:51], v[140:141] op_sel:[0,1] op_sel_hi:[1,0]
	v_pk_add_f32 v[20:21], v[10:11], v[20:21] neg_lo:[0,1] neg_hi:[0,1]
	v_mov_b32_e32 v143, v51
	v_pk_fma_f32 v[44:45], v[44:45], 2.0, v[142:143] op_sel_hi:[1,0,1] neg_lo:[0,0,1] neg_hi:[0,0,1]
	v_pk_fma_f32 v[10:11], v[10:11], 2.0, v[20:21] op_sel_hi:[1,0,1] neg_lo:[0,0,1] neg_hi:[0,0,1]
	v_pk_fma_f32 v[140:141], v[44:45], s[8:9], v[12:13] op_sel_hi:[1,0,1] neg_lo:[1,0,0] neg_hi:[1,0,0]
	v_pk_mul_f32 v[44:45], v[44:45], s[12:13] op_sel_hi:[1,0]
	s_movk_i32 s3, 0x1c00
	v_pk_add_f32 v[144:145], v[140:141], v[44:45] op_sel:[0,1] op_sel_hi:[1,0] neg_lo:[0,1] neg_hi:[0,1]
	v_pk_add_f32 v[44:45], v[140:141], v[44:45] op_sel:[0,1] op_sel_hi:[1,0]
	v_lshlrev_b32_e32 v18, 4, v0
	v_mov_b32_e32 v145, v45
	v_pk_add_f32 v[44:45], v[52:53], v[46:47] neg_lo:[0,1] neg_hi:[0,1]
	v_and_or_b32 v18, v18, s3, v102
	v_pk_fma_f32 v[46:47], v[52:53], 2.0, v[44:45] op_sel_hi:[1,0,1] neg_lo:[0,0,1] neg_hi:[0,0,1]
	v_pk_add_f32 v[52:53], v[112:113], v[56:57] neg_lo:[0,1] neg_hi:[0,1]
	v_pk_add_f32 v[46:47], v[10:11], v[46:47] neg_lo:[0,1] neg_hi:[0,1]
	v_pk_fma_f32 v[56:57], v[112:113], 2.0, v[52:53] op_sel_hi:[1,0,1] neg_lo:[0,0,1] neg_hi:[0,0,1]
	v_pk_add_f32 v[112:113], v[54:55], v[134:135] neg_lo:[0,1] neg_hi:[0,1]
	v_pk_fma_f32 v[10:11], v[10:11], 2.0, v[46:47] op_sel_hi:[1,0,1] neg_lo:[0,0,1] neg_hi:[0,0,1]
	v_pk_fma_f32 v[54:55], v[54:55], 2.0, v[112:113] op_sel_hi:[1,0,1] neg_lo:[0,0,1] neg_hi:[0,0,1]
	v_lshlrev_b32_e32 v99, 3, v18
	v_pk_add_f32 v[54:55], v[56:57], v[54:55] neg_lo:[0,1] neg_hi:[0,1]
	v_pk_fma_f32 v[12:13], v[12:13], 2.0, v[144:145] op_sel_hi:[1,0,1] neg_lo:[0,0,1] neg_hi:[0,0,1]
	v_pk_fma_f32 v[56:57], v[56:57], 2.0, v[54:55] op_sel_hi:[1,0,1] neg_lo:[0,0,1] neg_hi:[0,0,1]
	s_nop 0
	v_pk_add_f32 v[56:57], v[10:11], v[56:57] neg_lo:[0,1] neg_hi:[0,1]
	s_barrier
	v_pk_fma_f32 v[10:11], v[10:11], 2.0, v[56:57] op_sel_hi:[1,0,1] neg_lo:[0,0,1] neg_hi:[0,0,1]
	ds_write2st64_b64 v99, v[10:11], v[12:13] offset1:1
	v_pk_add_f32 v[10:11], v[20:21], v[44:45] op_sel:[0,1] op_sel_hi:[1,0] neg_lo:[0,1] neg_hi:[0,1]
	v_pk_add_f32 v[12:13], v[20:21], v[44:45] op_sel:[0,1] op_sel_hi:[1,0]
	v_pk_add_f32 v[44:45], v[52:53], v[112:113] op_sel:[0,1] op_sel_hi:[1,0]
	v_mov_b32_e32 v11, v13
	v_pk_add_f32 v[12:13], v[52:53], v[112:113] op_sel:[0,1] op_sel_hi:[1,0] neg_lo:[0,1] neg_hi:[0,1]
	v_pk_fma_f32 v[20:21], v[20:21], 2.0, v[10:11] op_sel_hi:[1,0,1] neg_lo:[0,0,1] neg_hi:[0,0,1]
	v_mov_b32_e32 v13, v45
	v_pk_fma_f32 v[44:45], v[52:53], 2.0, v[12:13] op_sel_hi:[1,0,1] neg_lo:[0,0,1] neg_hi:[0,0,1]
	v_pk_fma_f32 v[134:135], v[136:137], s[2:3], v[100:101] op_sel_hi:[1,0,1]
	v_pk_mul_f32 v[52:53], v[44:45], s[2:3] op_sel_hi:[1,0]
	v_pk_fma_f32 v[44:45], v[44:45], s[2:3], v[20:21] op_sel_hi:[1,0,1] neg_lo:[1,0,0] neg_hi:[1,0,0]
	s_nop 0
	v_pk_add_f32 v[112:113], v[44:45], v[52:53] op_sel:[0,1] op_sel_hi:[1,0] neg_lo:[0,1] neg_hi:[0,1]
	v_pk_add_f32 v[44:45], v[44:45], v[52:53] op_sel:[0,1] op_sel_hi:[1,0]
	s_nop 0
	v_mov_b32_e32 v113, v45
	v_pk_mul_f32 v[44:45], v[48:49], s[2:3] op_sel_hi:[1,0]
	v_pk_fma_f32 v[48:49], v[48:49], s[2:3], v[42:43] op_sel_hi:[1,0,1]
	v_pk_fma_f32 v[20:21], v[20:21], 2.0, v[112:113] op_sel_hi:[1,0,1] neg_lo:[0,0,1] neg_hi:[0,0,1]
	v_pk_add_f32 v[52:53], v[48:49], v[44:45] op_sel:[0,1] op_sel_hi:[1,0] neg_lo:[0,1] neg_hi:[0,1]
	v_pk_add_f32 v[44:45], v[48:49], v[44:45] op_sel:[0,1] op_sel_hi:[1,0]
	v_pk_mul_f32 v[48:49], v[136:137], s[2:3] op_sel_hi:[1,0]
	v_mov_b32_e32 v53, v45
	v_pk_add_f32 v[136:137], v[134:135], v[48:49] op_sel:[0,1] op_sel_hi:[1,0] neg_lo:[0,1] neg_hi:[0,1]
	v_pk_add_f32 v[48:49], v[134:135], v[48:49] op_sel:[0,1] op_sel_hi:[1,0]
	v_pk_fma_f32 v[42:43], v[42:43], 2.0, v[52:53] op_sel_hi:[1,0,1] neg_lo:[0,0,1] neg_hi:[0,0,1]
	v_mov_b32_e32 v137, v49
	v_pk_fma_f32 v[100:101], v[100:101], 2.0, v[136:137] op_sel_hi:[1,0,1] neg_lo:[0,0,1] neg_hi:[0,0,1]
	s_nop 0
	v_pk_fma_f32 v[134:135], v[100:101], s[12:13], v[42:43] op_sel_hi:[1,0,1] neg_lo:[1,0,0] neg_hi:[1,0,0]
	v_pk_mul_f32 v[100:101], v[100:101], s[8:9] op_sel_hi:[1,0]
	s_nop 0
	v_pk_add_f32 v[140:141], v[134:135], v[100:101] op_sel:[0,1] op_sel_hi:[1,0] neg_lo:[0,1] neg_hi:[0,1]
	v_pk_add_f32 v[100:101], v[134:135], v[100:101] op_sel:[0,1] op_sel_hi:[1,0]
	s_nop 0
	v_mov_b32_e32 v141, v101
	v_pk_fma_f32 v[42:43], v[42:43], 2.0, v[140:141] op_sel_hi:[1,0,1] neg_lo:[0,0,1] neg_hi:[0,0,1]
	ds_write2st64_b64 v99, v[20:21], v[42:43] offset0:2 offset1:3
	v_fmamk_f32 v20, v142, 0x3ec3ef15, v138
	v_fmamk_f32 v21, v51, 0x3ec3ef15, v19
	v_fmac_f32_e32 v20, 0xbf6c835e, v51
	v_pk_add_f32 v[42:43], v[46:47], v[54:55] op_sel:[0,1] op_sel_hi:[1,0] neg_lo:[0,1] neg_hi:[0,1]
	v_pk_add_f32 v[50:51], v[46:47], v[54:55] op_sel:[0,1] op_sel_hi:[1,0]
	v_fmac_f32_e32 v21, 0x3f6c835e, v142
	v_mov_b32_e32 v43, v51
	v_fma_f32 v18, v138, 2.0, -v20
	v_fma_f32 v19, v19, 2.0, -v21
	v_pk_fma_f32 v[46:47], v[46:47], 2.0, v[42:43] op_sel_hi:[1,0,1] neg_lo:[0,0,1] neg_hi:[0,0,1]
	ds_write2st64_b64 v99, v[46:47], v[18:19] offset0:4 offset1:5
	v_fmamk_f32 v18, v136, 0x3f6c835e, v52
	v_pk_mul_f32 v[46:47], v[12:13], s[2:3] op_sel_hi:[1,0]
	v_pk_fma_f32 v[12:13], v[12:13], s[2:3], v[10:11] op_sel_hi:[1,0,1]
	v_fmamk_f32 v19, v49, 0x3f6c835e, v45
	v_fmac_f32_e32 v18, 0xbec3ef15, v49
	v_pk_add_f32 v[48:49], v[12:13], v[46:47] op_sel:[0,1] op_sel_hi:[1,0] neg_lo:[0,1] neg_hi:[0,1]
	v_pk_add_f32 v[12:13], v[12:13], v[46:47] op_sel:[0,1] op_sel_hi:[1,0]
	v_fmac_f32_e32 v19, 0x3ec3ef15, v136
	v_mov_b32_e32 v49, v13
	v_fma_f32 v44, v52, 2.0, -v18
	v_fma_f32 v45, v45, 2.0, -v19
	v_pk_fma_f32 v[10:11], v[10:11], 2.0, v[48:49] op_sel_hi:[1,0,1] neg_lo:[0,0,1] neg_hi:[0,0,1]
	ds_write2st64_b64 v99, v[10:11], v[44:45] offset0:6 offset1:7
	ds_write2st64_b64 v99, v[56:57], v[144:145] offset0:8 offset1:9
	;; [unrolled: 1-line block ×5, first 2 shown]
	v_mad_u64_u32 v[42:43], s[10:11], v0, 56, s[10:11]
	s_movk_i32 s3, 0x1000
	v_add_co_u32_e32 v10, vcc, s3, v42
	s_waitcnt lgkmcnt(0)
	s_nop 0
	v_addc_co_u32_e32 v11, vcc, 0, v43, vcc
	s_barrier
	global_load_dwordx4 v[18:21], v[10:11], off offset:3968
	s_mov_b64 s[10:11], 0x1f80
	s_mov_b32 s3, 0x8000
	v_lshl_add_u64 v[138:139], v[42:43], 0, s[10:11]
	global_load_dwordx4 v[50:53], v[138:139], off offset:16
	v_add_co_u32_e32 v10, vcc, s3, v42
	s_mov_b64 s[10:11], 0x8f80
	s_nop 0
	v_addc_co_u32_e32 v11, vcc, 0, v43, vcc
	global_load_dwordx4 v[10:13], v[10:11], off offset:3968
	ds_read2st64_b64 v[46:49], v1 offset0:16 offset1:24
	v_lshl_add_u64 v[140:141], v[42:43], 0, s[10:11]
	global_load_dwordx4 v[42:45], v[140:141], off offset:16
	global_load_dwordx2 v[112:113], v[138:139], off offset:48
	ds_read2st64_b64 v[134:137], v1 offset0:48 offset1:56
	global_load_dwordx2 v[100:101], v[140:141], off offset:48
	s_waitcnt vmcnt(5) lgkmcnt(1)
	v_pk_mul_f32 v[54:55], v[46:47], v[18:19] op_sel:[0,1]
	s_nop 0
	v_pk_fma_f32 v[142:143], v[46:47], v[18:19], v[54:55] op_sel:[0,0,1] op_sel_hi:[1,1,0] neg_lo:[0,0,1] neg_hi:[0,0,1]
	v_pk_fma_f32 v[144:145], v[46:47], v[18:19], v[54:55] op_sel:[0,0,1] op_sel_hi:[1,0,0]
	ds_read2st64_b64 v[54:57], v1 offset0:32 offset1:40
	v_mov_b32_e32 v122, v21
	s_waitcnt vmcnt(4)
	v_mov_b32_e32 v124, v53
	v_mov_b32_e32 v143, v145
	s_waitcnt vmcnt(3)
	v_pk_mul_f32 v[46:47], v[48:49], v[10:11] op_sel:[0,1]
	s_nop 0
	v_pk_fma_f32 v[146:147], v[48:49], v[10:11], v[46:47] op_sel:[0,0,1] op_sel_hi:[1,1,0] neg_lo:[0,0,1] neg_hi:[0,0,1]
	v_pk_fma_f32 v[148:149], v[48:49], v[10:11], v[46:47] op_sel:[0,0,1] op_sel_hi:[1,0,0]
	s_waitcnt lgkmcnt(0)
	v_pk_mul_f32 v[46:47], v[54:55], v[122:123] op_sel_hi:[1,0]
	v_mov_b32_e32 v102, v13
	v_pk_fma_f32 v[150:151], v[54:55], v[20:21], v[46:47] op_sel:[0,0,1] op_sel_hi:[1,1,0] neg_lo:[0,0,1] neg_hi:[0,0,1]
	v_pk_fma_f32 v[152:153], v[54:55], v[20:21], v[46:47] op_sel:[0,0,1] op_sel_hi:[1,0,0]
	v_pk_mul_f32 v[46:47], v[56:57], v[102:103] op_sel_hi:[1,0]
	s_waitcnt vmcnt(2)
	v_mov_b32_e32 v106, v45
	v_pk_fma_f32 v[154:155], v[56:57], v[12:13], v[46:47] op_sel:[0,0,1] op_sel_hi:[1,1,0] neg_lo:[0,0,1] neg_hi:[0,0,1]
	v_pk_fma_f32 v[156:157], v[56:57], v[12:13], v[46:47] op_sel:[0,0,1] op_sel_hi:[1,0,0]
	global_load_dwordx4 v[54:57], v[138:139], off offset:32
	v_pk_mul_f32 v[46:47], v[134:135], v[50:51] op_sel:[0,1]
	v_mov_b32_e32 v151, v153
	v_pk_fma_f32 v[138:139], v[134:135], v[50:51], v[46:47] op_sel:[0,0,1] op_sel_hi:[1,1,0] neg_lo:[0,0,1] neg_hi:[0,0,1]
	v_pk_fma_f32 v[158:159], v[134:135], v[50:51], v[46:47] op_sel:[0,0,1] op_sel_hi:[1,0,0]
	global_load_dwordx4 v[46:49], v[140:141], off offset:32
	v_pk_mul_f32 v[134:135], v[136:137], v[42:43] op_sel:[0,1]
	v_mov_b32_e32 v139, v159
	v_pk_fma_f32 v[140:141], v[136:137], v[42:43], v[134:135] op_sel:[0,0,1] op_sel_hi:[1,1,0] neg_lo:[0,0,1] neg_hi:[0,0,1]
	v_pk_fma_f32 v[160:161], v[136:137], v[42:43], v[134:135] op_sel:[0,0,1] op_sel_hi:[1,0,0]
	ds_read2st64_b64 v[134:137], v1 offset0:64 offset1:72
	v_mov_b32_e32 v147, v149
	v_mov_b32_e32 v155, v157
	;; [unrolled: 1-line block ×3, first 2 shown]
	s_waitcnt lgkmcnt(0)
	v_pk_mul_f32 v[162:163], v[134:135], v[124:125] op_sel_hi:[1,0]
	s_nop 0
	v_pk_fma_f32 v[164:165], v[134:135], v[52:53], v[162:163] op_sel:[0,0,1] op_sel_hi:[1,1,0] neg_lo:[0,0,1] neg_hi:[0,0,1]
	v_pk_fma_f32 v[162:163], v[134:135], v[52:53], v[162:163] op_sel:[0,0,1] op_sel_hi:[1,0,0]
	v_pk_mul_f32 v[134:135], v[136:137], v[106:107] op_sel_hi:[1,0]
	v_mov_b32_e32 v165, v163
	v_pk_fma_f32 v[166:167], v[136:137], v[44:45], v[134:135] op_sel:[0,0,1] op_sel_hi:[1,1,0] neg_lo:[0,0,1] neg_hi:[0,0,1]
	v_pk_fma_f32 v[168:169], v[136:137], v[44:45], v[134:135] op_sel:[0,0,1] op_sel_hi:[1,0,0]
	ds_read2st64_b64 v[134:137], v1 offset0:80 offset1:88
	v_mov_b32_e32 v167, v169
	s_waitcnt vmcnt(1) lgkmcnt(0)
	v_pk_mul_f32 v[170:171], v[134:135], v[54:55] op_sel:[0,1]
	s_nop 0
	v_pk_fma_f32 v[172:173], v[134:135], v[54:55], v[170:171] op_sel:[0,0,1] op_sel_hi:[1,1,0] neg_lo:[0,0,1] neg_hi:[0,0,1]
	v_pk_fma_f32 v[170:171], v[134:135], v[54:55], v[170:171] op_sel:[0,0,1] op_sel_hi:[1,0,0]
	v_mov_b32_e32 v126, v57
	v_mov_b32_e32 v173, v171
	s_waitcnt vmcnt(0)
	v_pk_mul_f32 v[134:135], v[136:137], v[46:47] op_sel:[0,1]
	v_mov_b32_e32 v116, v49
	v_pk_fma_f32 v[174:175], v[136:137], v[46:47], v[134:135] op_sel:[0,0,1] op_sel_hi:[1,1,0] neg_lo:[0,0,1] neg_hi:[0,0,1]
	v_pk_fma_f32 v[176:177], v[136:137], v[46:47], v[134:135] op_sel:[0,0,1] op_sel_hi:[1,0,0]
	ds_read2st64_b64 v[134:137], v1 offset0:96 offset1:104
	v_mov_b32_e32 v175, v177
	v_pk_add_f32 v[156:157], v[142:143], v[172:173] neg_lo:[0,1] neg_hi:[0,1]
	v_pk_add_f32 v[162:163], v[146:147], v[174:175] neg_lo:[0,1] neg_hi:[0,1]
	v_pk_fma_f32 v[142:143], v[142:143], 2.0, v[156:157] op_sel_hi:[1,0,1] neg_lo:[0,0,1] neg_hi:[0,0,1]
	s_waitcnt lgkmcnt(0)
	v_pk_mul_f32 v[178:179], v[134:135], v[126:127] op_sel_hi:[1,0]
	v_pk_fma_f32 v[146:147], v[146:147], 2.0, v[162:163] op_sel_hi:[1,0,1] neg_lo:[0,0,1] neg_hi:[0,0,1]
	v_pk_fma_f32 v[180:181], v[134:135], v[56:57], v[178:179] op_sel:[0,0,1] op_sel_hi:[1,1,0] neg_lo:[0,0,1] neg_hi:[0,0,1]
	v_pk_fma_f32 v[178:179], v[134:135], v[56:57], v[178:179] op_sel:[0,0,1] op_sel_hi:[1,0,0]
	v_pk_mul_f32 v[134:135], v[136:137], v[116:117] op_sel_hi:[1,0]
	v_mov_b32_e32 v181, v179
	v_pk_fma_f32 v[182:183], v[136:137], v[48:49], v[134:135] op_sel:[0,0,1] op_sel_hi:[1,1,0] neg_lo:[0,0,1] neg_hi:[0,0,1]
	v_pk_fma_f32 v[184:185], v[136:137], v[48:49], v[134:135] op_sel:[0,0,1] op_sel_hi:[1,0,0]
	ds_read2st64_b64 v[134:137], v1 offset0:112 offset1:120
	v_mov_b32_e32 v183, v185
	v_pk_add_f32 v[152:153], v[150:151], v[180:181] neg_lo:[0,1] neg_hi:[0,1]
	v_pk_add_f32 v[160:161], v[154:155], v[182:183] neg_lo:[0,1] neg_hi:[0,1]
	v_pk_fma_f32 v[150:151], v[150:151], 2.0, v[152:153] op_sel_hi:[1,0,1] neg_lo:[0,0,1] neg_hi:[0,0,1]
	s_waitcnt lgkmcnt(0)
	v_pk_mul_f32 v[186:187], v[134:135], v[112:113] op_sel:[0,1]
	v_pk_fma_f32 v[154:155], v[154:155], 2.0, v[160:161] op_sel_hi:[1,0,1] neg_lo:[0,0,1] neg_hi:[0,0,1]
	v_pk_fma_f32 v[188:189], v[134:135], v[112:113], v[186:187] op_sel:[0,0,1] op_sel_hi:[1,1,0] neg_lo:[0,0,1] neg_hi:[0,0,1]
	v_pk_fma_f32 v[134:135], v[134:135], v[112:113], v[186:187] op_sel:[0,0,1] op_sel_hi:[1,0,0]
	v_pk_mul_f32 v[186:187], v[136:137], v[100:101] op_sel:[0,1]
	v_mov_b32_e32 v189, v135
	v_pk_fma_f32 v[190:191], v[136:137], v[100:101], v[186:187] op_sel:[0,0,1] op_sel_hi:[1,1,0] neg_lo:[0,0,1] neg_hi:[0,0,1]
	v_pk_fma_f32 v[136:137], v[136:137], v[100:101], v[186:187] op_sel:[0,0,1] op_sel_hi:[1,0,0]
	v_pk_add_f32 v[158:159], v[138:139], v[188:189] neg_lo:[0,1] neg_hi:[0,1]
	v_mov_b32_e32 v191, v137
	ds_read2st64_b64 v[134:137], v1 offset1:8
	v_pk_fma_f32 v[138:139], v[138:139], 2.0, v[158:159] op_sel_hi:[1,0,1] neg_lo:[0,0,1] neg_hi:[0,0,1]
	s_waitcnt lgkmcnt(0)
	v_pk_add_f32 v[144:145], v[134:135], v[164:165] neg_lo:[0,1] neg_hi:[0,1]
	v_pk_add_f32 v[148:149], v[136:137], v[166:167] neg_lo:[0,1] neg_hi:[0,1]
	;; [unrolled: 1-line block ×3, first 2 shown]
	v_pk_fma_f32 v[134:135], v[134:135], 2.0, v[144:145] op_sel_hi:[1,0,1] neg_lo:[0,0,1] neg_hi:[0,0,1]
	v_pk_fma_f32 v[136:137], v[136:137], 2.0, v[148:149] op_sel_hi:[1,0,1] neg_lo:[0,0,1] neg_hi:[0,0,1]
	;; [unrolled: 1-line block ×3, first 2 shown]
	v_pk_add_f32 v[150:151], v[134:135], v[150:151] neg_lo:[0,1] neg_hi:[0,1]
	v_pk_add_f32 v[138:139], v[142:143], v[138:139] neg_lo:[0,1] neg_hi:[0,1]
	;; [unrolled: 1-line block ×4, first 2 shown]
	v_pk_fma_f32 v[134:135], v[134:135], 2.0, v[150:151] op_sel_hi:[1,0,1] neg_lo:[0,0,1] neg_hi:[0,0,1]
	v_pk_fma_f32 v[142:143], v[142:143], 2.0, v[138:139] op_sel_hi:[1,0,1] neg_lo:[0,0,1] neg_hi:[0,0,1]
	;; [unrolled: 1-line block ×4, first 2 shown]
	v_pk_add_f32 v[142:143], v[134:135], v[142:143] neg_lo:[0,1] neg_hi:[0,1]
	v_pk_add_f32 v[146:147], v[136:137], v[146:147] neg_lo:[0,1] neg_hi:[0,1]
	v_pk_fma_f32 v[134:135], v[134:135], 2.0, v[142:143] op_sel_hi:[1,0,1] neg_lo:[0,0,1] neg_hi:[0,0,1]
	v_pk_fma_f32 v[136:137], v[136:137], 2.0, v[146:147] op_sel_hi:[1,0,1] neg_lo:[0,0,1] neg_hi:[0,0,1]
	ds_write2st64_b64 v1, v[134:135], v[136:137] offset1:8
	v_pk_add_f32 v[134:135], v[144:145], v[152:153] op_sel:[0,1] op_sel_hi:[1,0] neg_lo:[0,1] neg_hi:[0,1]
	v_pk_add_f32 v[136:137], v[144:145], v[152:153] op_sel:[0,1] op_sel_hi:[1,0]
	v_pk_add_f32 v[152:153], v[156:157], v[158:159] op_sel:[0,1] op_sel_hi:[1,0]
	v_mov_b32_e32 v135, v137
	v_pk_add_f32 v[136:137], v[156:157], v[158:159] op_sel:[0,1] op_sel_hi:[1,0] neg_lo:[0,1] neg_hi:[0,1]
	v_pk_fma_f32 v[144:145], v[144:145], 2.0, v[134:135] op_sel_hi:[1,0,1] neg_lo:[0,0,1] neg_hi:[0,0,1]
	v_mov_b32_e32 v137, v153
	v_pk_fma_f32 v[152:153], v[156:157], 2.0, v[136:137] op_sel_hi:[1,0,1] neg_lo:[0,0,1] neg_hi:[0,0,1]
	s_nop 0
	v_pk_mul_f32 v[156:157], v[152:153], s[2:3] op_sel_hi:[1,0]
	v_pk_fma_f32 v[152:153], v[152:153], s[2:3], v[144:145] op_sel_hi:[1,0,1] neg_lo:[1,0,0] neg_hi:[1,0,0]
	s_nop 0
	v_pk_add_f32 v[158:159], v[152:153], v[156:157] op_sel:[0,1] op_sel_hi:[1,0] neg_lo:[0,1] neg_hi:[0,1]
	v_pk_add_f32 v[152:153], v[152:153], v[156:157] op_sel:[0,1] op_sel_hi:[1,0]
	v_pk_add_f32 v[156:157], v[148:149], v[160:161] op_sel:[0,1] op_sel_hi:[1,0]
	v_mov_b32_e32 v159, v153
	v_pk_add_f32 v[152:153], v[148:149], v[160:161] op_sel:[0,1] op_sel_hi:[1,0] neg_lo:[0,1] neg_hi:[0,1]
	v_pk_add_f32 v[160:161], v[162:163], v[164:165] op_sel:[0,1] op_sel_hi:[1,0]
	v_mov_b32_e32 v153, v157
	v_pk_add_f32 v[156:157], v[162:163], v[164:165] op_sel:[0,1] op_sel_hi:[1,0] neg_lo:[0,1] neg_hi:[0,1]
	v_pk_fma_f32 v[148:149], v[148:149], 2.0, v[152:153] op_sel_hi:[1,0,1] neg_lo:[0,0,1] neg_hi:[0,0,1]
	v_mov_b32_e32 v157, v161
	v_pk_fma_f32 v[160:161], v[162:163], 2.0, v[156:157] op_sel_hi:[1,0,1] neg_lo:[0,0,1] neg_hi:[0,0,1]
	v_pk_fma_f32 v[144:145], v[144:145], 2.0, v[158:159] op_sel_hi:[1,0,1] neg_lo:[0,0,1] neg_hi:[0,0,1]
	v_pk_mul_f32 v[162:163], v[160:161], s[2:3] op_sel_hi:[1,0]
	v_pk_fma_f32 v[160:161], v[160:161], s[2:3], v[148:149] op_sel_hi:[1,0,1] neg_lo:[1,0,0] neg_hi:[1,0,0]
	s_nop 0
	v_pk_add_f32 v[164:165], v[160:161], v[162:163] op_sel:[0,1] op_sel_hi:[1,0] neg_lo:[0,1] neg_hi:[0,1]
	v_pk_add_f32 v[160:161], v[160:161], v[162:163] op_sel:[0,1] op_sel_hi:[1,0]
	s_nop 0
	v_mov_b32_e32 v165, v161
	v_pk_fma_f32 v[148:149], v[148:149], 2.0, v[164:165] op_sel_hi:[1,0,1] neg_lo:[0,0,1] neg_hi:[0,0,1]
	ds_write2st64_b64 v1, v[144:145], v[148:149] offset0:16 offset1:24
	v_pk_add_f32 v[144:145], v[150:151], v[138:139] op_sel:[0,1] op_sel_hi:[1,0] neg_lo:[0,1] neg_hi:[0,1]
	v_pk_add_f32 v[138:139], v[150:151], v[138:139] op_sel:[0,1] op_sel_hi:[1,0]
	s_nop 0
	v_mov_b32_e32 v145, v139
	v_pk_add_f32 v[138:139], v[154:155], v[140:141] op_sel:[0,1] op_sel_hi:[1,0] neg_lo:[0,1] neg_hi:[0,1]
	v_pk_add_f32 v[140:141], v[154:155], v[140:141] op_sel:[0,1] op_sel_hi:[1,0]
	s_nop 0
	v_mov_b32_e32 v139, v141
	v_pk_fma_f32 v[140:141], v[150:151], 2.0, v[144:145] op_sel_hi:[1,0,1] neg_lo:[0,0,1] neg_hi:[0,0,1]
	v_pk_fma_f32 v[148:149], v[154:155], 2.0, v[138:139] op_sel_hi:[1,0,1] neg_lo:[0,0,1] neg_hi:[0,0,1]
	ds_write2st64_b64 v1, v[140:141], v[148:149] offset0:32 offset1:40
	v_pk_mul_f32 v[140:141], v[136:137], s[2:3] op_sel_hi:[1,0]
	v_pk_fma_f32 v[136:137], v[136:137], s[2:3], v[134:135] op_sel_hi:[1,0,1]
	s_nop 0
	v_pk_add_f32 v[148:149], v[136:137], v[140:141] op_sel:[0,1] op_sel_hi:[1,0] neg_lo:[0,1] neg_hi:[0,1]
	v_pk_add_f32 v[136:137], v[136:137], v[140:141] op_sel:[0,1] op_sel_hi:[1,0]
	v_pk_fma_f32 v[140:141], v[156:157], s[2:3], v[152:153] op_sel_hi:[1,0,1]
	v_mov_b32_e32 v149, v137
	v_pk_mul_f32 v[136:137], v[156:157], s[2:3] op_sel_hi:[1,0]
	v_pk_fma_f32 v[134:135], v[134:135], 2.0, v[148:149] op_sel_hi:[1,0,1] neg_lo:[0,0,1] neg_hi:[0,0,1]
	v_pk_add_f32 v[150:151], v[140:141], v[136:137] op_sel:[0,1] op_sel_hi:[1,0] neg_lo:[0,1] neg_hi:[0,1]
	v_pk_add_f32 v[136:137], v[140:141], v[136:137] op_sel:[0,1] op_sel_hi:[1,0]
	s_nop 0
	v_mov_b32_e32 v151, v137
	v_pk_fma_f32 v[136:137], v[152:153], 2.0, v[150:151] op_sel_hi:[1,0,1] neg_lo:[0,0,1] neg_hi:[0,0,1]
	ds_write2st64_b64 v1, v[134:135], v[136:137] offset0:48 offset1:56
	ds_write2st64_b64 v1, v[142:143], v[146:147] offset0:64 offset1:72
	ds_write2st64_b64 v1, v[158:159], v[164:165] offset0:80 offset1:88
	ds_write2st64_b64 v1, v[144:145], v[138:139] offset0:96 offset1:104
	ds_write2st64_b64 v1, v[148:149], v[150:151] offset0:112 offset1:120
	s_waitcnt lgkmcnt(0)
	s_barrier
	global_load_dwordx2 v[134:135], v132, s[14:15]
	global_load_dwordx2 v[136:137], v133, s[14:15]
	;; [unrolled: 1-line block ×8, first 2 shown]
	ds_read2st64_b64 v[130:133], v1 offset1:8
	s_waitcnt vmcnt(5) lgkmcnt(0)
	v_mul_f32_e32 v13, v131, v139
	v_fma_f32 v150, v130, v138, -v13
	v_mul_f32_e32 v151, v130, v139
	s_waitcnt vmcnt(4)
	v_mul_f32_e32 v13, v133, v141
	v_mul_f32_e32 v139, v132, v141
	v_fmac_f32_e32 v151, v131, v138
	v_fma_f32 v138, v132, v140, -v13
	v_fmac_f32_e32 v139, v133, v140
	ds_read2st64_b64 v[130:133], v1 offset0:16 offset1:24
	s_waitcnt lgkmcnt(0)
	v_mul_f32_e32 v13, v131, v135
	v_fma_f32 v140, v130, v134, -v13
	v_mul_f32_e32 v141, v130, v135
	v_mul_f32_e32 v13, v133, v137
	;; [unrolled: 1-line block ×3, first 2 shown]
	v_fmac_f32_e32 v141, v131, v134
	v_fma_f32 v134, v132, v136, -v13
	v_fmac_f32_e32 v135, v133, v136
	ds_read2st64_b64 v[130:133], v1 offset0:32 offset1:40
	s_waitcnt vmcnt(3) lgkmcnt(0)
	v_mul_f32_e32 v13, v131, v143
	v_fma_f32 v136, v130, v142, -v13
	v_mul_f32_e32 v137, v130, v143
	s_waitcnt vmcnt(2)
	v_mul_f32_e32 v13, v133, v145
	v_mul_f32_e32 v143, v132, v145
	v_fmac_f32_e32 v137, v131, v142
	v_fma_f32 v142, v132, v144, -v13
	v_fmac_f32_e32 v143, v133, v144
	ds_read2st64_b64 v[130:133], v1 offset0:48 offset1:56
	s_waitcnt vmcnt(1) lgkmcnt(0)
	v_mul_f32_e32 v13, v131, v147
	v_fma_f32 v144, v130, v146, -v13
	v_mul_f32_e32 v145, v130, v147
	s_waitcnt vmcnt(0)
	v_mul_f32_e32 v13, v133, v149
	v_mul_f32_e32 v147, v132, v149
	v_fmac_f32_e32 v145, v131, v146
	v_fma_f32 v146, v132, v148, -v13
	v_fmac_f32_e32 v147, v133, v148
	global_load_dwordx2 v[132:133], v115, s[14:15]
	global_load_dwordx2 v[148:149], v119, s[14:15]
	global_load_dwordx2 v[152:153], v123, s[14:15]
	global_load_dwordx2 v[154:155], v128, s[14:15]
	ds_read2st64_b64 v[128:131], v1 offset0:64 offset1:72
	s_waitcnt vmcnt(3) lgkmcnt(0)
	v_mul_f32_e32 v13, v129, v133
	v_fma_f32 v156, v128, v132, -v13
	v_mul_f32_e32 v157, v128, v133
	s_waitcnt vmcnt(2)
	v_mul_f32_e32 v13, v131, v149
	v_mul_f32_e32 v133, v130, v149
	v_fmac_f32_e32 v157, v129, v132
	v_fma_f32 v132, v130, v148, -v13
	v_fmac_f32_e32 v133, v131, v148
	ds_read2st64_b64 v[128:131], v1 offset0:80 offset1:88
	s_waitcnt vmcnt(1) lgkmcnt(0)
	v_mul_f32_e32 v13, v129, v153
	v_fma_f32 v148, v128, v152, -v13
	v_mul_f32_e32 v149, v128, v153
	s_waitcnt vmcnt(0)
	v_mul_f32_e32 v13, v131, v155
	v_mul_f32_e32 v153, v130, v155
	v_fmac_f32_e32 v149, v129, v152
	v_fma_f32 v152, v130, v154, -v13
	v_fmac_f32_e32 v153, v131, v154
	global_load_dwordx2 v[154:155], v109, s[14:15]
	global_load_dwordx2 v[158:159], v111, s[14:15]
	;; [unrolled: 1-line block ×4, first 2 shown]
	ds_read2st64_b64 v[128:131], v1 offset0:96 offset1:104
	s_waitcnt vmcnt(3) lgkmcnt(0)
	v_mul_f32_e32 v13, v129, v155
	v_fma_f32 v164, v128, v154, -v13
	v_mul_f32_e32 v165, v128, v155
	s_waitcnt vmcnt(2)
	v_mul_f32_e32 v13, v131, v159
	v_mul_f32_e32 v155, v130, v159
	v_fmac_f32_e32 v165, v129, v154
	v_fma_f32 v154, v130, v158, -v13
	v_fmac_f32_e32 v155, v131, v158
	ds_read2st64_b64 v[128:131], v1 offset0:112 offset1:120
	s_waitcnt vmcnt(1) lgkmcnt(0)
	v_mul_f32_e32 v13, v129, v161
	v_mul_f32_e32 v159, v128, v161
	v_fma_f32 v158, v128, v160, -v13
	v_fmac_f32_e32 v159, v129, v160
	s_waitcnt vmcnt(0)
	v_mul_f32_e32 v13, v131, v163
	v_mul_f32_e32 v129, v130, v163
	v_fma_f32 v128, v130, v162, -v13
	v_fmac_f32_e32 v129, v131, v162
	ds_write2st64_b64 v1, v[150:151], v[138:139] offset1:8
	ds_write2st64_b64 v1, v[140:141], v[134:135] offset0:16 offset1:24
	ds_write2st64_b64 v1, v[136:137], v[142:143] offset0:32 offset1:40
	;; [unrolled: 1-line block ×7, first 2 shown]
	s_waitcnt lgkmcnt(0)
	s_barrier
	ds_read2st64_b64 v[128:131], v1 offset1:8
	ds_read2st64_b64 v[132:135], v1 offset0:64 offset1:72
	s_waitcnt lgkmcnt(0)
	v_pk_add_f32 v[144:145], v[128:129], v[132:133] neg_lo:[0,1] neg_hi:[0,1]
	v_pk_add_f32 v[146:147], v[130:131], v[134:135] neg_lo:[0,1] neg_hi:[0,1]
	ds_read2st64_b64 v[132:135], v1 offset0:32 offset1:40
	ds_read2st64_b64 v[136:139], v1 offset0:96 offset1:104
	v_pk_fma_f32 v[148:149], v[128:129], 2.0, v[144:145] op_sel_hi:[1,0,1] neg_lo:[0,0,1] neg_hi:[0,0,1]
	v_pk_fma_f32 v[150:151], v[130:131], 2.0, v[146:147] op_sel_hi:[1,0,1] neg_lo:[0,0,1] neg_hi:[0,0,1]
	ds_read2st64_b64 v[128:131], v1 offset0:16 offset1:24
	ds_read2st64_b64 v[140:143], v1 offset0:80 offset1:88
	s_waitcnt lgkmcnt(2)
	v_pk_add_f32 v[136:137], v[132:133], v[136:137] neg_lo:[0,1] neg_hi:[0,1]
	v_pk_add_f32 v[138:139], v[134:135], v[138:139] neg_lo:[0,1] neg_hi:[0,1]
	v_pk_fma_f32 v[152:153], v[132:133], 2.0, v[136:137] op_sel_hi:[1,0,1] neg_lo:[0,0,1] neg_hi:[0,0,1]
	s_waitcnt lgkmcnt(0)
	v_pk_add_f32 v[140:141], v[128:129], v[140:141] neg_lo:[0,1] neg_hi:[0,1]
	v_pk_add_f32 v[142:143], v[130:131], v[142:143] neg_lo:[0,1] neg_hi:[0,1]
	v_pk_fma_f32 v[154:155], v[134:135], 2.0, v[138:139] op_sel_hi:[1,0,1] neg_lo:[0,0,1] neg_hi:[0,0,1]
	v_pk_fma_f32 v[156:157], v[128:129], 2.0, v[140:141] op_sel_hi:[1,0,1] neg_lo:[0,0,1] neg_hi:[0,0,1]
	;; [unrolled: 1-line block ×3, first 2 shown]
	ds_read2st64_b64 v[128:131], v1 offset0:48 offset1:56
	ds_read2st64_b64 v[132:135], v1 offset0:112 offset1:120
	v_pk_add_f32 v[160:161], v[144:145], v[136:137] op_sel:[0,1] op_sel_hi:[1,0]
	v_pk_add_f32 v[136:137], v[144:145], v[136:137] op_sel:[0,1] op_sel_hi:[1,0] neg_lo:[0,1] neg_hi:[0,1]
	v_pk_add_f32 v[162:163], v[146:147], v[138:139] op_sel:[0,1] op_sel_hi:[1,0]
	v_mov_b32_e32 v161, v137
	s_waitcnt lgkmcnt(0)
	v_pk_add_f32 v[132:133], v[128:129], v[132:133] neg_lo:[0,1] neg_hi:[0,1]
	v_pk_add_f32 v[134:135], v[130:131], v[134:135] neg_lo:[0,1] neg_hi:[0,1]
	v_pk_fma_f32 v[128:129], v[128:129], 2.0, v[132:133] op_sel_hi:[1,0,1] neg_lo:[0,0,1] neg_hi:[0,0,1]
	v_pk_add_f32 v[136:137], v[140:141], v[132:133] op_sel:[0,1] op_sel_hi:[1,0]
	v_pk_add_f32 v[132:133], v[140:141], v[132:133] op_sel:[0,1] op_sel_hi:[1,0] neg_lo:[0,1] neg_hi:[0,1]
	v_pk_fma_f32 v[130:131], v[130:131], 2.0, v[134:135] op_sel_hi:[1,0,1] neg_lo:[0,0,1] neg_hi:[0,0,1]
	v_mov_b32_e32 v137, v133
	v_pk_add_f32 v[132:133], v[146:147], v[138:139] op_sel:[0,1] op_sel_hi:[1,0] neg_lo:[0,1] neg_hi:[0,1]
	v_pk_add_f32 v[138:139], v[142:143], v[134:135] op_sel:[0,1] op_sel_hi:[1,0]
	v_mov_b32_e32 v163, v133
	v_pk_add_f32 v[132:133], v[142:143], v[134:135] op_sel:[0,1] op_sel_hi:[1,0] neg_lo:[0,1] neg_hi:[0,1]
	v_pk_fma_f32 v[134:135], v[140:141], 2.0, v[136:137] op_sel_hi:[1,0,1] neg_lo:[0,0,1] neg_hi:[0,0,1]
	v_mov_b32_e32 v139, v133
	v_pk_fma_f32 v[132:133], v[144:145], 2.0, v[160:161] op_sel_hi:[1,0,1] neg_lo:[0,0,1] neg_hi:[0,0,1]
	v_pk_mul_f32 v[140:141], v[134:135], s[2:3] op_sel_hi:[1,0]
	v_pk_fma_f32 v[134:135], v[134:135], s[2:3], v[132:133] op_sel_hi:[1,0,1] neg_lo:[1,0,0] neg_hi:[1,0,0]
	v_pk_fma_f32 v[142:143], v[142:143], 2.0, v[138:139] op_sel_hi:[1,0,1] neg_lo:[0,0,1] neg_hi:[0,0,1]
	v_pk_add_f32 v[144:145], v[134:135], v[140:141] op_sel:[0,1] op_sel_hi:[1,0]
	v_pk_add_f32 v[140:141], v[134:135], v[140:141] op_sel:[0,1] op_sel_hi:[1,0] neg_lo:[0,1] neg_hi:[0,1]
	v_pk_fma_f32 v[134:135], v[146:147], 2.0, v[162:163] op_sel_hi:[1,0,1] neg_lo:[0,0,1] neg_hi:[0,0,1]
	v_pk_mul_f32 v[146:147], v[142:143], s[2:3] op_sel_hi:[1,0]
	v_pk_fma_f32 v[142:143], v[142:143], s[2:3], v[134:135] op_sel_hi:[1,0,1] neg_lo:[1,0,0] neg_hi:[1,0,0]
	v_pk_add_f32 v[154:155], v[150:151], v[154:155] neg_lo:[0,1] neg_hi:[0,1]
	v_pk_add_f32 v[164:165], v[142:143], v[146:147] op_sel:[0,1] op_sel_hi:[1,0]
	v_pk_add_f32 v[142:143], v[142:143], v[146:147] op_sel:[0,1] op_sel_hi:[1,0] neg_lo:[0,1] neg_hi:[0,1]
	v_pk_add_f32 v[146:147], v[148:149], v[152:153] neg_lo:[0,1] neg_hi:[0,1]
	v_pk_add_f32 v[152:153], v[156:157], v[128:129] neg_lo:[0,1] neg_hi:[0,1]
	v_pk_fma_f32 v[150:151], v[150:151], 2.0, v[154:155] op_sel_hi:[1,0,1] neg_lo:[0,0,1] neg_hi:[0,0,1]
	v_pk_fma_f32 v[128:129], v[156:157], 2.0, v[152:153] op_sel_hi:[1,0,1] neg_lo:[0,0,1] neg_hi:[0,0,1]
	v_pk_add_f32 v[156:157], v[158:159], v[130:131] neg_lo:[0,1] neg_hi:[0,1]
	v_pk_fma_f32 v[148:149], v[148:149], 2.0, v[146:147] op_sel_hi:[1,0,1] neg_lo:[0,0,1] neg_hi:[0,0,1]
	v_pk_fma_f32 v[130:131], v[158:159], 2.0, v[156:157] op_sel_hi:[1,0,1] neg_lo:[0,0,1] neg_hi:[0,0,1]
	v_mov_b32_e32 v145, v141
	v_pk_add_f32 v[166:167], v[150:151], v[130:131] neg_lo:[0,1] neg_hi:[0,1]
	v_mov_b32_e32 v165, v143
	v_pk_add_f32 v[158:159], v[148:149], v[128:129] neg_lo:[0,1] neg_hi:[0,1]
	v_pk_fma_f32 v[128:129], v[150:151], 2.0, v[166:167] op_sel_hi:[1,0,1] neg_lo:[0,0,1] neg_hi:[0,0,1]
	v_pk_fma_f32 v[150:151], v[132:133], 2.0, v[144:145] op_sel_hi:[1,0,1] neg_lo:[0,0,1] neg_hi:[0,0,1]
	;; [unrolled: 1-line block ×4, first 2 shown]
	v_pk_fma_f32 v[132:133], v[130:131], s[8:9], v[150:151] op_sel_hi:[1,0,1] neg_lo:[1,0,0] neg_hi:[1,0,0]
	v_pk_mul_f32 v[134:135], v[130:131], s[12:13] op_sel_hi:[1,0]
	v_pk_add_f32 v[128:129], v[148:149], v[128:129] neg_lo:[0,1] neg_hi:[0,1]
	v_pk_add_f32 v[130:131], v[132:133], v[134:135] op_sel:[0,1] op_sel_hi:[1,0]
	v_pk_add_f32 v[168:169], v[132:133], v[134:135] op_sel:[0,1] op_sel_hi:[1,0] neg_lo:[0,1] neg_hi:[0,1]
	v_pk_add_f32 v[174:175], v[146:147], v[152:153] op_sel:[0,1] op_sel_hi:[1,0]
	v_mov_b32_e32 v131, v169
	v_pk_add_f32 v[152:153], v[146:147], v[152:153] op_sel:[0,1] op_sel_hi:[1,0] neg_lo:[0,1] neg_hi:[0,1]
	v_pk_fma_f32 v[132:133], v[148:149], 2.0, v[128:129] op_sel_hi:[1,0,1] neg_lo:[0,0,1] neg_hi:[0,0,1]
	v_pk_fma_f32 v[134:135], v[150:151], 2.0, v[130:131] op_sel_hi:[1,0,1] neg_lo:[0,0,1] neg_hi:[0,0,1]
	v_mov_b32_e32 v175, v153
	s_barrier
	ds_write_b128 v91, v[132:135]
	v_pk_mul_f32 v[132:133], v[136:137], s[2:3] op_sel_hi:[1,0]
	v_pk_fma_f32 v[134:135], v[136:137], s[2:3], v[160:161] op_sel_hi:[1,0,1]
	v_pk_fma_f32 v[136:137], v[146:147], 2.0, v[174:175] op_sel_hi:[1,0,1] neg_lo:[0,0,1] neg_hi:[0,0,1]
	v_pk_add_f32 v[146:147], v[154:155], v[156:157] op_sel:[0,1] op_sel_hi:[1,0]
	v_pk_add_f32 v[156:157], v[154:155], v[156:157] op_sel:[0,1] op_sel_hi:[1,0] neg_lo:[0,1] neg_hi:[0,1]
	v_pk_add_f32 v[148:149], v[134:135], v[132:133] op_sel:[0,1] op_sel_hi:[1,0]
	v_pk_add_f32 v[150:151], v[134:135], v[132:133] op_sel:[0,1] op_sel_hi:[1,0] neg_lo:[0,1] neg_hi:[0,1]
	v_pk_mul_f32 v[132:133], v[138:139], s[2:3] op_sel_hi:[1,0]
	v_pk_fma_f32 v[134:135], v[138:139], s[2:3], v[162:163] op_sel_hi:[1,0,1]
	v_mov_b32_e32 v147, v157
	v_pk_add_f32 v[170:171], v[134:135], v[132:133] op_sel:[0,1] op_sel_hi:[1,0]
	v_pk_add_f32 v[172:173], v[134:135], v[132:133] op_sel:[0,1] op_sel_hi:[1,0] neg_lo:[0,1] neg_hi:[0,1]
	v_pk_fma_f32 v[132:133], v[154:155], 2.0, v[146:147] op_sel_hi:[1,0,1] neg_lo:[0,0,1] neg_hi:[0,0,1]
	v_mov_b32_e32 v149, v151
	v_pk_mul_f32 v[134:135], v[132:133], s[2:3] op_sel_hi:[1,0]
	v_pk_fma_f32 v[132:133], v[132:133], s[2:3], v[136:137] op_sel_hi:[1,0,1] neg_lo:[1,0,0] neg_hi:[1,0,0]
	v_mov_b32_e32 v171, v173
	v_pk_add_f32 v[154:155], v[132:133], v[134:135] op_sel:[0,1] op_sel_hi:[1,0] neg_lo:[0,1] neg_hi:[0,1]
	v_pk_add_f32 v[132:133], v[132:133], v[134:135] op_sel:[0,1] op_sel_hi:[1,0]
	v_pk_fma_f32 v[138:139], v[160:161], 2.0, v[148:149] op_sel_hi:[1,0,1] neg_lo:[0,0,1] neg_hi:[0,0,1]
	v_pk_fma_f32 v[134:135], v[162:163], 2.0, v[170:171] op_sel_hi:[1,0,1] neg_lo:[0,0,1] neg_hi:[0,0,1]
	v_mov_b32_e32 v133, v155
	v_pk_fma_f32 v[160:161], v[134:135], s[12:13], v[138:139] op_sel_hi:[1,0,1] neg_lo:[1,0,0] neg_hi:[1,0,0]
	v_pk_mul_f32 v[162:163], v[134:135], s[8:9] op_sel_hi:[1,0]
	v_pk_fma_f32 v[136:137], v[136:137], 2.0, v[132:133] op_sel_hi:[1,0,1] neg_lo:[0,0,1] neg_hi:[0,0,1]
	v_pk_add_f32 v[134:135], v[160:161], v[162:163] op_sel:[0,1] op_sel_hi:[1,0]
	v_pk_add_f32 v[160:161], v[160:161], v[162:163] op_sel:[0,1] op_sel_hi:[1,0] neg_lo:[0,1] neg_hi:[0,1]
	v_mov_b32_e32 v165, v157
	v_mov_b32_e32 v135, v161
	v_pk_fma_f32 v[138:139], v[138:139], 2.0, v[134:135] op_sel_hi:[1,0,1] neg_lo:[0,0,1] neg_hi:[0,0,1]
	ds_write_b128 v91, v[136:139] offset:16
	ds_write_b128 v91, v[128:131] offset:64
	;; [unrolled: 1-line block ×3, first 2 shown]
	v_fmamk_f32 v130, v164, 0x3ec3ef15, v144
	v_pk_add_f32 v[128:129], v[158:159], v[166:167] op_sel:[0,1] op_sel_hi:[1,0]
	v_pk_add_f32 v[134:135], v[158:159], v[166:167] op_sel:[0,1] op_sel_hi:[1,0] neg_lo:[0,1] neg_hi:[0,1]
	v_fmac_f32_e32 v130, 0x3f6c835e, v143
	v_mov_b32_e32 v129, v135
	v_fma_f32 v134, v144, 2.0, -v130
	v_pk_fma_f32 v[132:133], v[158:159], 2.0, v[128:129] op_sel_hi:[1,0,1] neg_lo:[0,0,1] neg_hi:[0,0,1]
	ds_write_b96 v91, v[132:134] offset:32
	ds_write_b96 v91, v[128:130] offset:96
	v_mov_b32_e32 v128, v143
	v_mov_b32_e32 v129, v146
	v_pk_mul_f32 v[130:131], v[156:157], s[8:9]
	v_mov_b32_e32 v132, v141
	v_mov_b32_e32 v133, v174
	v_add_f32_e32 v13, v153, v131
	v_pk_mul_f32 v[130:131], v[128:129], s[12:13]
	v_pk_fma_f32 v[128:129], v[128:129], s[12:13], v[132:133]
	v_sub_f32_e32 v130, v13, v131
	v_pk_fma_f32 v[134:135], v[164:165], s[8:9], v[128:129] neg_lo:[1,0,0] neg_hi:[1,0,0]
	v_pk_fma_f32 v[128:129], v[164:165], s[8:9], v[128:129]
	v_fmamk_f32 v131, v170, 0x3f6c835e, v148
	v_mov_b32_e32 v135, v129
	v_fmamk_f32 v13, v173, 0x3f6c835e, v151
	v_pk_fma_f32 v[128:129], v[132:133], 2.0, v[134:135] op_sel_hi:[1,0,1] neg_lo:[0,0,1] neg_hi:[0,0,1]
	v_fmac_f32_e32 v131, 0x3ec3ef15, v173
	v_fmac_f32_e32 v13, 0xbec3ef15, v170
	ds_write2_b32 v91, v128, v129 offset0:11 offset1:12
	v_mov_b32_e32 v128, v153
	v_mov_b32_e32 v129, v148
	v_pk_fma_f32 v[128:129], v[128:129], 2.0, v[130:131] op_sel_hi:[1,0,1] neg_lo:[0,0,1] neg_hi:[0,0,1]
	v_fma_f32 v21, v151, 2.0, -v13
	ds_write2_b32 v91, v128, v129 offset0:13 offset1:14
	ds_write2_b32 v91, v134, v135 offset0:27 offset1:28
	;; [unrolled: 1-line block ×4, first 2 shown]
	s_waitcnt lgkmcnt(0)
	s_barrier
	ds_read2st64_b64 v[128:131], v1 offset0:48 offset1:56
	ds_read2st64_b64 v[132:135], v1 offset0:80 offset1:88
	s_waitcnt lgkmcnt(1)
	v_pk_mul_f32 v[136:137], v[2:3], v[130:131] op_sel:[1,0]
	s_nop 0
	v_pk_fma_f32 v[138:139], v[2:3], v[130:131], v[136:137] op_sel:[0,0,1] op_sel_hi:[1,1,0]
	v_pk_fma_f32 v[136:137], v[2:3], v[130:131], v[136:137] op_sel:[0,0,1] op_sel_hi:[0,1,0] neg_lo:[0,0,1] neg_hi:[0,0,1]
	v_pk_mul_f32 v[130:131], v[2:3], v[128:129] op_sel:[1,0]
	s_waitcnt lgkmcnt(0)
	v_pk_mul_f32 v[144:145], v[96:97], v[134:135] op_sel_hi:[0,1]
	v_pk_fma_f32 v[140:141], v[2:3], v[128:129], v[130:131] op_sel:[0,0,1] op_sel_hi:[1,1,0]
	v_pk_fma_f32 v[142:143], v[2:3], v[128:129], v[130:131] op_sel:[0,0,1] op_sel_hi:[0,1,0] neg_lo:[0,0,1] neg_hi:[0,0,1]
	ds_read2st64_b64 v[128:131], v1 offset0:32 offset1:40
	v_pk_fma_f32 v[146:147], v[4:5], v[134:135], v[144:145] op_sel:[0,0,1] op_sel_hi:[1,1,0]
	v_pk_fma_f32 v[134:135], v[4:5], v[134:135], v[144:145] op_sel:[0,0,1] op_sel_hi:[0,1,0] neg_lo:[0,0,1] neg_hi:[0,0,1]
	v_pk_mul_f32 v[144:145], v[96:97], v[132:133] op_sel_hi:[0,1]
	v_pk_fma_f32 v[148:149], v[4:5], v[132:133], v[144:145] op_sel:[0,0,1] op_sel_hi:[1,1,0]
	v_pk_fma_f32 v[132:133], v[4:5], v[132:133], v[144:145] op_sel:[0,0,1] op_sel_hi:[0,1,0] neg_lo:[0,0,1] neg_hi:[0,0,1]
	s_waitcnt lgkmcnt(0)
	v_pk_mul_f32 v[144:145], v[2:3], v[130:131] op_sel:[1,0]
	v_mov_b32_e32 v141, v143
	v_pk_fma_f32 v[150:151], v[2:3], v[130:131], v[144:145] op_sel:[0,0,1] op_sel_hi:[1,1,0]
	v_pk_fma_f32 v[144:145], v[2:3], v[130:131], v[144:145] op_sel:[0,0,1] op_sel_hi:[0,1,0] neg_lo:[0,0,1] neg_hi:[0,0,1]
	v_pk_mul_f32 v[130:131], v[2:3], v[128:129] op_sel:[1,0]
	v_mov_b32_e32 v151, v145
	v_pk_fma_f32 v[152:153], v[2:3], v[128:129], v[130:131] op_sel:[0,0,1] op_sel_hi:[1,1,0]
	v_pk_fma_f32 v[154:155], v[2:3], v[128:129], v[130:131] op_sel:[0,0,1] op_sel_hi:[0,1,0] neg_lo:[0,0,1] neg_hi:[0,0,1]
	ds_read2st64_b64 v[128:131], v1 offset0:64 offset1:72
	v_mov_b32_e32 v153, v155
	v_mov_b32_e32 v149, v133
	;; [unrolled: 1-line block ×4, first 2 shown]
	s_waitcnt lgkmcnt(0)
	v_pk_mul_f32 v[2:3], v[96:97], v[130:131] op_sel_hi:[0,1]
	v_pk_fma_f32 v[156:157], v[4:5], v[130:131], v[2:3] op_sel:[0,0,1] op_sel_hi:[1,1,0]
	v_pk_fma_f32 v[158:159], v[4:5], v[130:131], v[2:3] op_sel:[0,0,1] op_sel_hi:[0,1,0] neg_lo:[0,0,1] neg_hi:[0,0,1]
	v_pk_mul_f32 v[2:3], v[96:97], v[128:129] op_sel_hi:[0,1]
	v_pk_fma_f32 v[130:131], v[4:5], v[128:129], v[2:3] op_sel:[0,0,1] op_sel_hi:[1,1,0]
	v_pk_fma_f32 v[128:129], v[4:5], v[128:129], v[2:3] op_sel:[0,0,1] op_sel_hi:[0,1,0] neg_lo:[0,0,1] neg_hi:[0,0,1]
	ds_read2st64_b64 v[2:5], v1 offset0:112 offset1:120
	v_mov_b32_e32 v131, v129
	v_mov_b32_e32 v157, v159
	s_waitcnt lgkmcnt(0)
	v_pk_mul_f32 v[160:161], v[92:93], v[4:5] op_sel:[1,0]
	s_nop 0
	v_pk_fma_f32 v[162:163], v[92:93], v[4:5], v[160:161] op_sel:[0,0,1] op_sel_hi:[1,1,0]
	v_pk_fma_f32 v[160:161], v[92:93], v[4:5], v[160:161] op_sel:[0,0,1] op_sel_hi:[0,1,0] neg_lo:[0,0,1] neg_hi:[0,0,1]
	v_pk_mul_f32 v[4:5], v[92:93], v[2:3] op_sel:[1,0]
	v_mov_b32_e32 v163, v161
	v_pk_fma_f32 v[164:165], v[92:93], v[2:3], v[4:5] op_sel:[0,0,1] op_sel_hi:[1,1,0]
	v_pk_fma_f32 v[166:167], v[92:93], v[2:3], v[4:5] op_sel:[0,0,1] op_sel_hi:[0,1,0] neg_lo:[0,0,1] neg_hi:[0,0,1]
	ds_read2st64_b64 v[2:5], v1 offset0:96 offset1:104
	v_mov_b32_e32 v165, v167
	s_waitcnt lgkmcnt(0)
	v_pk_mul_f32 v[168:169], v[92:93], v[4:5] op_sel:[1,0]
	s_nop 0
	v_pk_fma_f32 v[170:171], v[92:93], v[4:5], v[168:169] op_sel:[0,0,1] op_sel_hi:[1,1,0]
	v_pk_fma_f32 v[168:169], v[92:93], v[4:5], v[168:169] op_sel:[0,0,1] op_sel_hi:[0,1,0] neg_lo:[0,0,1] neg_hi:[0,0,1]
	v_pk_mul_f32 v[4:5], v[92:93], v[2:3] op_sel:[1,0]
	v_mov_b32_e32 v171, v169
	v_pk_fma_f32 v[172:173], v[92:93], v[2:3], v[4:5] op_sel:[0,0,1] op_sel_hi:[1,1,0]
	v_pk_fma_f32 v[2:3], v[92:93], v[2:3], v[4:5] op_sel:[0,0,1] op_sel_hi:[0,1,0] neg_lo:[0,0,1] neg_hi:[0,0,1]
	v_mov_b32_e32 v173, v3
	ds_read2st64_b64 v[2:5], v1 offset1:8
	v_pk_add_f32 v[128:129], v[152:153], v[172:173] neg_lo:[0,1] neg_hi:[0,1]
	s_waitcnt lgkmcnt(0)
	v_pk_add_f32 v[92:93], v[2:3], v[130:131] neg_lo:[0,1] neg_hi:[0,1]
	v_pk_fma_f32 v[130:131], v[152:153], 2.0, v[128:129] op_sel_hi:[1,0,1] neg_lo:[0,0,1] neg_hi:[0,0,1]
	v_pk_add_f32 v[152:153], v[92:93], v[128:129] op_sel:[0,1] op_sel_hi:[1,0]
	v_pk_add_f32 v[128:129], v[92:93], v[128:129] op_sel:[0,1] op_sel_hi:[1,0] neg_lo:[0,1] neg_hi:[0,1]
	v_pk_fma_f32 v[2:3], v[2:3], 2.0, v[92:93] op_sel_hi:[1,0,1] neg_lo:[0,0,1] neg_hi:[0,0,1]
	v_mov_b32_e32 v153, v129
	v_pk_add_f32 v[154:155], v[2:3], v[130:131] neg_lo:[0,1] neg_hi:[0,1]
	ds_read2st64_b64 v[128:131], v1 offset0:16 offset1:24
	v_pk_fma_f32 v[2:3], v[2:3], 2.0, v[154:155] op_sel_hi:[1,0,1] neg_lo:[0,0,1] neg_hi:[0,0,1]
	v_pk_fma_f32 v[92:93], v[92:93], 2.0, v[152:153] op_sel_hi:[1,0,1] neg_lo:[0,0,1] neg_hi:[0,0,1]
	s_waitcnt lgkmcnt(0)
	s_barrier
	ds_write2_b64 v107, v[2:3], v[92:93] offset1:16
	ds_write2_b64 v107, v[154:155], v[152:153] offset0:32 offset1:48
	v_pk_add_f32 v[2:3], v[4:5], v[156:157] neg_lo:[0,1] neg_hi:[0,1]
	v_pk_add_f32 v[92:93], v[150:151], v[170:171] neg_lo:[0,1] neg_hi:[0,1]
	v_pk_fma_f32 v[4:5], v[4:5], 2.0, v[2:3] op_sel_hi:[1,0,1] neg_lo:[0,0,1] neg_hi:[0,0,1]
	v_pk_fma_f32 v[144:145], v[150:151], 2.0, v[92:93] op_sel_hi:[1,0,1] neg_lo:[0,0,1] neg_hi:[0,0,1]
	v_pk_add_f32 v[150:151], v[2:3], v[92:93] op_sel:[0,1] op_sel_hi:[1,0]
	v_pk_add_f32 v[92:93], v[2:3], v[92:93] op_sel:[0,1] op_sel_hi:[1,0] neg_lo:[0,1] neg_hi:[0,1]
	s_nop 0
	v_mov_b32_e32 v151, v93
	v_pk_add_f32 v[92:93], v[4:5], v[144:145] neg_lo:[0,1] neg_hi:[0,1]
	v_pk_fma_f32 v[2:3], v[2:3], 2.0, v[150:151] op_sel_hi:[1,0,1] neg_lo:[0,0,1] neg_hi:[0,0,1]
	v_pk_fma_f32 v[4:5], v[4:5], 2.0, v[92:93] op_sel_hi:[1,0,1] neg_lo:[0,0,1] neg_hi:[0,0,1]
	ds_write2_b64 v105, v[4:5], v[2:3] offset1:16
	ds_write2_b64 v105, v[92:93], v[150:151] offset0:32 offset1:48
	v_pk_add_f32 v[2:3], v[128:129], v[148:149] neg_lo:[0,1] neg_hi:[0,1]
	v_pk_add_f32 v[4:5], v[140:141], v[164:165] neg_lo:[0,1] neg_hi:[0,1]
	s_nop 0
	v_pk_fma_f32 v[92:93], v[140:141], 2.0, v[4:5] op_sel_hi:[1,0,1] neg_lo:[0,0,1] neg_hi:[0,0,1]
	v_pk_add_f32 v[132:133], v[2:3], v[4:5] op_sel:[0,1] op_sel_hi:[1,0]
	v_pk_add_f32 v[4:5], v[2:3], v[4:5] op_sel:[0,1] op_sel_hi:[1,0] neg_lo:[0,1] neg_hi:[0,1]
	s_nop 0
	v_mov_b32_e32 v133, v5
	v_pk_fma_f32 v[4:5], v[128:129], 2.0, v[2:3] op_sel_hi:[1,0,1] neg_lo:[0,0,1] neg_hi:[0,0,1]
	v_pk_fma_f32 v[2:3], v[2:3], 2.0, v[132:133] op_sel_hi:[1,0,1] neg_lo:[0,0,1] neg_hi:[0,0,1]
	v_pk_add_f32 v[92:93], v[4:5], v[92:93] neg_lo:[0,1] neg_hi:[0,1]
	s_nop 0
	v_pk_fma_f32 v[4:5], v[4:5], 2.0, v[92:93] op_sel_hi:[1,0,1] neg_lo:[0,0,1] neg_hi:[0,0,1]
	ds_write2_b64 v103, v[4:5], v[2:3] offset1:16
	ds_write2_b64 v103, v[92:93], v[132:133] offset0:32 offset1:48
	v_pk_add_f32 v[2:3], v[130:131], v[146:147] neg_lo:[0,1] neg_hi:[0,1]
	v_pk_add_f32 v[92:93], v[138:139], v[162:163] neg_lo:[0,1] neg_hi:[0,1]
	v_pk_fma_f32 v[4:5], v[130:131], 2.0, v[2:3] op_sel_hi:[1,0,1] neg_lo:[0,0,1] neg_hi:[0,0,1]
	v_pk_fma_f32 v[128:129], v[138:139], 2.0, v[92:93] op_sel_hi:[1,0,1] neg_lo:[0,0,1] neg_hi:[0,0,1]
	v_pk_add_f32 v[130:131], v[2:3], v[92:93] op_sel:[0,1] op_sel_hi:[1,0]
	v_pk_add_f32 v[92:93], v[2:3], v[92:93] op_sel:[0,1] op_sel_hi:[1,0] neg_lo:[0,1] neg_hi:[0,1]
	s_nop 0
	v_mov_b32_e32 v131, v93
	v_pk_add_f32 v[92:93], v[4:5], v[128:129] neg_lo:[0,1] neg_hi:[0,1]
	v_pk_fma_f32 v[2:3], v[2:3], 2.0, v[130:131] op_sel_hi:[1,0,1] neg_lo:[0,0,1] neg_hi:[0,0,1]
	v_pk_fma_f32 v[4:5], v[4:5], 2.0, v[92:93] op_sel_hi:[1,0,1] neg_lo:[0,0,1] neg_hi:[0,0,1]
	ds_write2_b64 v97, v[4:5], v[2:3] offset1:16
	ds_write2_b64 v97, v[92:93], v[130:131] offset0:32 offset1:48
	s_waitcnt lgkmcnt(0)
	s_barrier
	ds_read2st64_b64 v[2:5], v1 offset1:8
	ds_read2st64_b64 v[128:131], v1 offset0:16 offset1:24
	ds_read2st64_b64 v[132:135], v1 offset0:32 offset1:40
	s_waitcnt lgkmcnt(2)
	v_pk_mul_f32 v[96:97], v[30:31], v[4:5] op_sel:[1,0]
	s_nop 0
	v_pk_fma_f32 v[92:93], v[30:31], v[4:5], v[96:97] op_sel:[0,0,1] op_sel_hi:[1,1,0]
	v_pk_fma_f32 v[136:137], v[30:31], v[4:5], v[96:97] op_sel:[0,0,1] op_sel_hi:[0,1,0] neg_lo:[0,0,1] neg_hi:[0,0,1]
	s_waitcnt lgkmcnt(1)
	v_pk_mul_f32 v[4:5], v[120:121], v[128:129] op_sel_hi:[0,1]
	v_pk_fma_f32 v[96:97], v[32:33], v[128:129], v[4:5] op_sel:[0,0,1] op_sel_hi:[1,1,0]
	v_pk_fma_f32 v[32:33], v[32:33], v[128:129], v[4:5] op_sel:[0,0,1] op_sel_hi:[0,1,0] neg_lo:[0,0,1] neg_hi:[0,0,1]
	v_pk_mul_f32 v[4:5], v[26:27], v[130:131] op_sel:[1,0]
	v_mov_b32_e32 v97, v33
	v_pk_fma_f32 v[30:31], v[26:27], v[130:131], v[4:5] op_sel:[0,0,1] op_sel_hi:[1,1,0]
	v_pk_fma_f32 v[128:129], v[26:27], v[130:131], v[4:5] op_sel:[0,0,1] op_sel_hi:[0,1,0] neg_lo:[0,0,1] neg_hi:[0,0,1]
	s_waitcnt lgkmcnt(0)
	v_pk_mul_f32 v[4:5], v[118:119], v[132:133] op_sel_hi:[0,1]
	ds_read2st64_b64 v[118:121], v1 offset0:48 offset1:56
	v_pk_fma_f32 v[130:131], v[28:29], v[132:133], v[4:5] op_sel:[0,0,1] op_sel_hi:[1,1,0]
	v_pk_fma_f32 v[132:133], v[28:29], v[132:133], v[4:5] op_sel:[0,0,1] op_sel_hi:[0,1,0] neg_lo:[0,0,1] neg_hi:[0,0,1]
	v_pk_mul_f32 v[4:5], v[22:23], v[134:135] op_sel:[1,0]
	ds_read2st64_b64 v[26:29], v1 offset0:64 offset1:72
	v_pk_fma_f32 v[138:139], v[22:23], v[134:135], v[4:5] op_sel:[0,0,1] op_sel_hi:[1,1,0]
	v_pk_fma_f32 v[134:135], v[22:23], v[134:135], v[4:5] op_sel:[0,0,1] op_sel_hi:[0,1,0] neg_lo:[0,0,1] neg_hi:[0,0,1]
	s_waitcnt lgkmcnt(1)
	v_pk_mul_f32 v[4:5], v[114:115], v[118:119] op_sel_hi:[0,1]
	v_pk_fma_f32 v[114:115], v[24:25], v[118:119], v[4:5] op_sel:[0,0,1] op_sel_hi:[1,1,0]
	v_pk_fma_f32 v[118:119], v[24:25], v[118:119], v[4:5] op_sel:[0,0,1] op_sel_hi:[0,1,0] neg_lo:[0,0,1] neg_hi:[0,0,1]
	ds_read2st64_b64 v[22:25], v1 offset0:80 offset1:88
	v_pk_mul_f32 v[4:5], v[14:15], v[120:121] op_sel:[1,0]
	v_mov_b32_e32 v131, v133
	v_pk_fma_f32 v[140:141], v[14:15], v[120:121], v[4:5] op_sel:[0,0,1] op_sel_hi:[1,1,0]
	v_pk_fma_f32 v[14:15], v[14:15], v[120:121], v[4:5] op_sel:[0,0,1] op_sel_hi:[0,1,0] neg_lo:[0,0,1] neg_hi:[0,0,1]
	s_waitcnt lgkmcnt(1)
	v_pk_mul_f32 v[4:5], v[110:111], v[26:27] op_sel_hi:[0,1]
	v_pk_fma_f32 v[110:111], v[16:17], v[26:27], v[4:5] op_sel:[0,0,1] op_sel_hi:[1,1,0]
	v_pk_fma_f32 v[16:17], v[16:17], v[26:27], v[4:5] op_sel:[0,0,1] op_sel_hi:[0,1,0] neg_lo:[0,0,1] neg_hi:[0,0,1]
	v_pk_mul_f32 v[4:5], v[38:39], v[28:29] op_sel:[1,0]
	v_mov_b32_e32 v141, v15
	v_pk_fma_f32 v[26:27], v[38:39], v[28:29], v[4:5] op_sel:[0,0,1] op_sel_hi:[1,1,0]
	v_pk_fma_f32 v[28:29], v[38:39], v[28:29], v[4:5] op_sel:[0,0,1] op_sel_hi:[0,1,0] neg_lo:[0,0,1] neg_hi:[0,0,1]
	s_waitcnt lgkmcnt(0)
	v_pk_mul_f32 v[4:5], v[108:109], v[22:23] op_sel_hi:[0,1]
	v_pk_fma_f32 v[38:39], v[40:41], v[22:23], v[4:5] op_sel:[0,0,1] op_sel_hi:[1,1,0]
	v_pk_fma_f32 v[22:23], v[40:41], v[22:23], v[4:5] op_sel:[0,0,1] op_sel_hi:[0,1,0] neg_lo:[0,0,1] neg_hi:[0,0,1]
	v_mad_u64_u32 v[4:5], s[10:11], s6, v90, 0
	v_mov_b32_e32 v14, v5
	v_mad_u64_u32 v[40:41], s[6:7], s7, v90, v[14:15]
	v_mov_b32_e32 v111, v17
	ds_read2st64_b64 v[14:17], v1 offset0:96 offset1:104
	v_mov_b32_e32 v39, v23
	v_pk_mul_f32 v[22:23], v[34:35], v[24:25] op_sel:[1,0]
	v_mov_b32_e32 v27, v29
	v_pk_fma_f32 v[28:29], v[34:35], v[24:25], v[22:23] op_sel:[0,0,1] op_sel_hi:[1,1,0]
	v_pk_fma_f32 v[22:23], v[34:35], v[24:25], v[22:23] op_sel:[0,0,1] op_sel_hi:[0,1,0] neg_lo:[0,0,1] neg_hi:[0,0,1]
	v_mov_b32_e32 v29, v23
	s_waitcnt lgkmcnt(0)
	v_pk_mul_f32 v[22:23], v[104:105], v[14:15] op_sel_hi:[0,1]
	v_pk_fma_f32 v[24:25], v[36:37], v[14:15], v[22:23] op_sel:[0,0,1] op_sel_hi:[1,1,0]
	v_pk_fma_f32 v[22:23], v[36:37], v[14:15], v[22:23] op_sel:[0,0,1] op_sel_hi:[0,1,0] neg_lo:[0,0,1] neg_hi:[0,0,1]
	v_pk_mul_f32 v[14:15], v[6:7], v[16:17] op_sel:[1,0]
	v_mov_b32_e32 v25, v23
	v_pk_fma_f32 v[32:33], v[6:7], v[16:17], v[14:15] op_sel:[0,0,1] op_sel_hi:[1,1,0]
	v_pk_fma_f32 v[34:35], v[6:7], v[16:17], v[14:15] op_sel:[0,0,1] op_sel_hi:[0,1,0] neg_lo:[0,0,1] neg_hi:[0,0,1]
	ds_read2st64_b64 v[14:17], v1 offset0:112 offset1:120
	v_mov_b32_e32 v33, v35
	v_mov_b32_e32 v115, v119
	;; [unrolled: 1-line block ×4, first 2 shown]
	s_waitcnt lgkmcnt(0)
	v_pk_mul_f32 v[22:23], v[98:99], v[14:15] op_sel_hi:[0,1]
	v_pk_fma_f32 v[34:35], v[8:9], v[14:15], v[22:23] op_sel:[0,0,1] op_sel_hi:[1,1,0]
	v_pk_fma_f32 v[8:9], v[8:9], v[14:15], v[22:23] op_sel:[0,0,1] op_sel_hi:[0,1,0] neg_lo:[0,0,1] neg_hi:[0,0,1]
	v_mov_b32_e32 v35, v9
	v_pk_mul_f32 v[8:9], v[94:95], v[16:17] op_sel:[1,0]
	v_pk_add_f32 v[34:35], v[114:115], v[34:35] neg_lo:[0,1] neg_hi:[0,1]
	v_pk_fma_f32 v[14:15], v[94:95], v[16:17], v[8:9] op_sel:[0,0,1] op_sel_hi:[1,1,0]
	v_pk_fma_f32 v[8:9], v[94:95], v[16:17], v[8:9] op_sel:[0,0,1] op_sel_hi:[0,1,0] neg_lo:[0,0,1] neg_hi:[0,0,1]
	v_mov_b32_e32 v15, v9
	v_pk_add_f32 v[8:9], v[2:3], v[110:111] neg_lo:[0,1] neg_hi:[0,1]
	v_pk_add_f32 v[16:17], v[130:131], v[24:25] neg_lo:[0,1] neg_hi:[0,1]
	;; [unrolled: 1-line block ×3, first 2 shown]
	v_pk_fma_f32 v[22:23], v[130:131], 2.0, v[16:17] op_sel_hi:[1,0,1] neg_lo:[0,0,1] neg_hi:[0,0,1]
	v_pk_add_f32 v[94:95], v[8:9], v[16:17] op_sel:[0,1] op_sel_hi:[1,0]
	v_pk_add_f32 v[16:17], v[8:9], v[16:17] op_sel:[0,1] op_sel_hi:[1,0] neg_lo:[0,1] neg_hi:[0,1]
	v_mov_b32_e32 v31, v129
	v_pk_fma_f32 v[38:39], v[114:115], 2.0, v[34:35] op_sel_hi:[1,0,1] neg_lo:[0,0,1] neg_hi:[0,0,1]
	v_pk_add_f32 v[26:27], v[92:93], v[26:27] neg_lo:[0,1] neg_hi:[0,1]
	v_pk_add_f32 v[32:33], v[138:139], v[32:33] neg_lo:[0,1] neg_hi:[0,1]
	v_mov_b32_e32 v95, v17
	v_pk_add_f32 v[16:17], v[24:25], v[34:35] op_sel:[0,1] op_sel_hi:[1,0]
	v_pk_add_f32 v[34:35], v[24:25], v[34:35] op_sel:[0,1] op_sel_hi:[1,0] neg_lo:[0,1] neg_hi:[0,1]
	v_pk_fma_f32 v[90:91], v[138:139], 2.0, v[32:33] op_sel_hi:[1,0,1] neg_lo:[0,0,1] neg_hi:[0,0,1]
	v_pk_add_f32 v[28:29], v[30:31], v[28:29] neg_lo:[0,1] neg_hi:[0,1]
	v_pk_add_f32 v[14:15], v[140:141], v[14:15] neg_lo:[0,1] neg_hi:[0,1]
	v_mov_b32_e32 v17, v35
	v_pk_add_f32 v[34:35], v[26:27], v[32:33] op_sel:[0,1] op_sel_hi:[1,0]
	v_pk_add_f32 v[32:33], v[26:27], v[32:33] op_sel:[0,1] op_sel_hi:[1,0] neg_lo:[0,1] neg_hi:[0,1]
	v_mov_b32_e32 v5, v40
	v_pk_fma_f32 v[40:41], v[92:93], 2.0, v[26:27] op_sel_hi:[1,0,1] neg_lo:[0,0,1] neg_hi:[0,0,1]
	v_pk_fma_f32 v[92:93], v[140:141], 2.0, v[14:15] op_sel_hi:[1,0,1] neg_lo:[0,0,1] neg_hi:[0,0,1]
	v_mov_b32_e32 v35, v33
	v_pk_add_f32 v[32:33], v[28:29], v[14:15] op_sel:[0,1] op_sel_hi:[1,0]
	v_pk_add_f32 v[14:15], v[28:29], v[14:15] op_sel:[0,1] op_sel_hi:[1,0] neg_lo:[0,1] neg_hi:[0,1]
	v_pk_fma_f32 v[2:3], v[2:3], 2.0, v[8:9] op_sel_hi:[1,0,1] neg_lo:[0,0,1] neg_hi:[0,0,1]
	v_pk_fma_f32 v[36:37], v[96:97], 2.0, v[24:25] op_sel_hi:[1,0,1] neg_lo:[0,0,1] neg_hi:[0,0,1]
	;; [unrolled: 1-line block ×4, first 2 shown]
	v_mov_b32_e32 v33, v15
	v_pk_fma_f32 v[30:31], v[30:31], 2.0, v[28:29] op_sel_hi:[1,0,1] neg_lo:[0,0,1] neg_hi:[0,0,1]
	v_pk_fma_f32 v[26:27], v[26:27], 2.0, v[34:35] op_sel_hi:[1,0,1] neg_lo:[0,0,1] neg_hi:[0,0,1]
	;; [unrolled: 1-line block ×3, first 2 shown]
	v_pk_mul_f32 v[28:29], v[24:25], s[2:3] op_sel_hi:[1,0]
	v_pk_fma_f32 v[24:25], v[24:25], s[2:3], v[8:9] op_sel_hi:[1,0,1] neg_lo:[1,0,0] neg_hi:[1,0,0]
	v_pk_add_f32 v[22:23], v[2:3], v[22:23] neg_lo:[0,1] neg_hi:[0,1]
	v_pk_add_f32 v[96:97], v[24:25], v[28:29] op_sel:[0,1] op_sel_hi:[1,0]
	v_pk_add_f32 v[24:25], v[24:25], v[28:29] op_sel:[0,1] op_sel_hi:[1,0] neg_lo:[0,1] neg_hi:[0,1]
	v_pk_mul_f32 v[28:29], v[14:15], s[2:3] op_sel_hi:[1,0]
	v_pk_fma_f32 v[14:15], v[14:15], s[2:3], v[26:27] op_sel_hi:[1,0,1] neg_lo:[1,0,0] neg_hi:[1,0,0]
	v_pk_add_f32 v[38:39], v[36:37], v[38:39] neg_lo:[0,1] neg_hi:[0,1]
	v_pk_add_f32 v[104:105], v[14:15], v[28:29] op_sel:[0,1] op_sel_hi:[1,0]
	v_pk_add_f32 v[14:15], v[14:15], v[28:29] op_sel:[0,1] op_sel_hi:[1,0] neg_lo:[0,1] neg_hi:[0,1]
	v_pk_add_f32 v[90:91], v[40:41], v[90:91] neg_lo:[0,1] neg_hi:[0,1]
	v_pk_add_f32 v[92:93], v[30:31], v[92:93] neg_lo:[0,1] neg_hi:[0,1]
	v_mov_b32_e32 v97, v25
	v_mov_b32_e32 v105, v15
	v_pk_fma_f32 v[2:3], v[2:3], 2.0, v[22:23] op_sel_hi:[1,0,1] neg_lo:[0,0,1] neg_hi:[0,0,1]
	v_pk_fma_f32 v[36:37], v[36:37], 2.0, v[38:39] op_sel_hi:[1,0,1] neg_lo:[0,0,1] neg_hi:[0,0,1]
	;; [unrolled: 1-line block ×6, first 2 shown]
	v_pk_add_f32 v[36:37], v[2:3], v[36:37] neg_lo:[0,1] neg_hi:[0,1]
	v_pk_add_f32 v[30:31], v[40:41], v[30:31] neg_lo:[0,1] neg_hi:[0,1]
	v_pk_fma_f32 v[28:29], v[26:27], s[8:9], v[8:9] op_sel_hi:[1,0,1] neg_lo:[1,0,0] neg_hi:[1,0,0]
	v_pk_mul_f32 v[26:27], v[26:27], s[12:13] op_sel_hi:[1,0]
	v_pk_fma_f32 v[2:3], v[2:3], 2.0, v[36:37] op_sel_hi:[1,0,1] neg_lo:[0,0,1] neg_hi:[0,0,1]
	v_pk_fma_f32 v[40:41], v[40:41], 2.0, v[30:31] op_sel_hi:[1,0,1] neg_lo:[0,0,1] neg_hi:[0,0,1]
	v_pk_add_f32 v[108:109], v[28:29], v[26:27] op_sel:[0,1] op_sel_hi:[1,0]
	v_pk_add_f32 v[26:27], v[28:29], v[26:27] op_sel:[0,1] op_sel_hi:[1,0] neg_lo:[0,1] neg_hi:[0,1]
	v_pk_add_f32 v[40:41], v[2:3], v[40:41] neg_lo:[0,1] neg_hi:[0,1]
	v_mov_b32_e32 v109, v27
	v_pk_fma_f32 v[2:3], v[2:3], 2.0, v[40:41] op_sel_hi:[1,0,1] neg_lo:[0,0,1] neg_hi:[0,0,1]
	v_pk_fma_f32 v[8:9], v[8:9], 2.0, v[108:109] op_sel_hi:[1,0,1] neg_lo:[0,0,1] neg_hi:[0,0,1]
	s_barrier
	v_fmamk_f32 v27, v15, 0x3ec3ef15, v25
	ds_write2st64_b64 v99, v[2:3], v[8:9] offset1:1
	v_pk_add_f32 v[2:3], v[22:23], v[38:39] op_sel:[0,1] op_sel_hi:[1,0]
	v_pk_add_f32 v[8:9], v[22:23], v[38:39] op_sel:[0,1] op_sel_hi:[1,0] neg_lo:[0,1] neg_hi:[0,1]
	v_fmamk_f32 v26, v104, 0x3ec3ef15, v96
	v_fmac_f32_e32 v27, 0xbf6c835e, v104
	v_mov_b32_e32 v3, v9
	v_fmac_f32_e32 v26, 0x3f6c835e, v15
	v_fma_f32 v15, v25, 2.0, -v27
	v_pk_fma_f32 v[8:9], v[22:23], 2.0, v[2:3] op_sel_hi:[1,0,1] neg_lo:[0,0,1] neg_hi:[0,0,1]
	v_pk_add_f32 v[22:23], v[90:91], v[92:93] op_sel:[0,1] op_sel_hi:[1,0]
	v_pk_add_f32 v[24:25], v[90:91], v[92:93] op_sel:[0,1] op_sel_hi:[1,0] neg_lo:[0,1] neg_hi:[0,1]
	v_fma_f32 v14, v96, 2.0, -v26
	v_mov_b32_e32 v23, v25
	v_pk_fma_f32 v[24:25], v[90:91], 2.0, v[22:23] op_sel_hi:[1,0,1] neg_lo:[0,0,1] neg_hi:[0,0,1]
	v_pk_mul_f32 v[90:91], v[32:33], s[2:3] op_sel_hi:[1,0]
	v_pk_mul_f32 v[28:29], v[24:25], s[2:3] op_sel_hi:[1,0]
	v_pk_fma_f32 v[24:25], v[24:25], s[2:3], v[8:9] op_sel_hi:[1,0,1] neg_lo:[1,0,0] neg_hi:[1,0,0]
	v_pk_fma_f32 v[32:33], v[32:33], s[2:3], v[34:35] op_sel_hi:[1,0,1]
	v_pk_add_f32 v[38:39], v[24:25], v[28:29] op_sel:[0,1] op_sel_hi:[1,0]
	v_pk_add_f32 v[24:25], v[24:25], v[28:29] op_sel:[0,1] op_sel_hi:[1,0] neg_lo:[0,1] neg_hi:[0,1]
	v_pk_add_f32 v[92:93], v[32:33], v[90:91] op_sel:[0,1] op_sel_hi:[1,0]
	v_mov_b32_e32 v39, v25
	v_pk_mul_f32 v[24:25], v[16:17], s[2:3] op_sel_hi:[1,0]
	v_pk_fma_f32 v[16:17], v[16:17], s[2:3], v[94:95] op_sel_hi:[1,0,1]
	v_pk_add_f32 v[32:33], v[32:33], v[90:91] op_sel:[0,1] op_sel_hi:[1,0] neg_lo:[0,1] neg_hi:[0,1]
	v_pk_add_f32 v[28:29], v[16:17], v[24:25] op_sel:[0,1] op_sel_hi:[1,0]
	v_pk_add_f32 v[16:17], v[16:17], v[24:25] op_sel:[0,1] op_sel_hi:[1,0] neg_lo:[0,1] neg_hi:[0,1]
	v_mov_b32_e32 v93, v33
	v_mov_b32_e32 v29, v17
	v_pk_fma_f32 v[24:25], v[94:95], 2.0, v[28:29] op_sel_hi:[1,0,1] neg_lo:[0,0,1] neg_hi:[0,0,1]
	v_pk_fma_f32 v[34:35], v[34:35], 2.0, v[92:93] op_sel_hi:[1,0,1] neg_lo:[0,0,1] neg_hi:[0,0,1]
	;; [unrolled: 1-line block ×3, first 2 shown]
	v_pk_fma_f32 v[90:91], v[34:35], s[12:13], v[24:25] op_sel_hi:[1,0,1] neg_lo:[1,0,0] neg_hi:[1,0,0]
	v_pk_mul_f32 v[34:35], v[34:35], s[8:9] op_sel_hi:[1,0]
	v_mov_b32_e32 v6, s0
	v_pk_add_f32 v[94:95], v[90:91], v[34:35] op_sel:[0,1] op_sel_hi:[1,0]
	v_pk_add_f32 v[34:35], v[90:91], v[34:35] op_sel:[0,1] op_sel_hi:[1,0] neg_lo:[0,1] neg_hi:[0,1]
	v_mov_b32_e32 v7, s1
	v_mov_b32_e32 v95, v35
	v_pk_fma_f32 v[24:25], v[24:25], 2.0, v[94:95] op_sel_hi:[1,0,1] neg_lo:[0,0,1] neg_hi:[0,0,1]
	ds_write2st64_b64 v99, v[8:9], v[24:25] offset0:2 offset1:3
	v_pk_add_f32 v[8:9], v[36:37], v[30:31] op_sel:[0,1] op_sel_hi:[1,0]
	v_pk_add_f32 v[24:25], v[36:37], v[30:31] op_sel:[0,1] op_sel_hi:[1,0] neg_lo:[0,1] neg_hi:[0,1]
	v_fmamk_f32 v34, v92, 0x3f6c835e, v28
	v_mov_b32_e32 v9, v25
	v_pk_fma_f32 v[24:25], v[36:37], 2.0, v[8:9] op_sel_hi:[1,0,1] neg_lo:[0,0,1] neg_hi:[0,0,1]
	ds_write2st64_b64 v99, v[24:25], v[14:15] offset0:4 offset1:5
	v_pk_mul_f32 v[14:15], v[22:23], s[2:3] op_sel_hi:[1,0]
	v_pk_fma_f32 v[22:23], v[22:23], s[2:3], v[2:3] op_sel_hi:[1,0,1]
	v_fmamk_f32 v35, v33, 0x3f6c835e, v17
	v_pk_add_f32 v[24:25], v[22:23], v[14:15] op_sel:[0,1] op_sel_hi:[1,0]
	v_pk_add_f32 v[14:15], v[22:23], v[14:15] op_sel:[0,1] op_sel_hi:[1,0] neg_lo:[0,1] neg_hi:[0,1]
	v_fmac_f32_e32 v34, 0x3ec3ef15, v33
	v_fmac_f32_e32 v35, 0xbec3ef15, v92
	v_mov_b32_e32 v25, v15
	v_fma_f32 v16, v28, 2.0, -v34
	v_fma_f32 v17, v17, 2.0, -v35
	v_pk_fma_f32 v[2:3], v[2:3], 2.0, v[24:25] op_sel_hi:[1,0,1] neg_lo:[0,0,1] neg_hi:[0,0,1]
	ds_write2st64_b64 v99, v[2:3], v[16:17] offset0:6 offset1:7
	ds_write2st64_b64 v99, v[40:41], v[108:109] offset0:8 offset1:9
	;; [unrolled: 1-line block ×5, first 2 shown]
	s_waitcnt lgkmcnt(0)
	s_barrier
	ds_read2st64_b64 v[14:17], v1 offset1:8
	ds_read2st64_b64 v[22:25], v1 offset0:16 offset1:24
	ds_read2st64_b64 v[26:29], v1 offset0:32 offset1:40
	;; [unrolled: 1-line block ×7, first 2 shown]
	s_waitcnt lgkmcnt(6)
	v_pk_mul_f32 v[2:3], v[18:19], v[22:23] op_sel:[1,0]
	v_lshl_add_u64 v[4:5], v[4:5], 3, v[6:7]
	v_pk_fma_f32 v[8:9], v[18:19], v[22:23], v[2:3] op_sel:[0,0,1] op_sel_hi:[1,1,0]
	v_pk_fma_f32 v[2:3], v[18:19], v[22:23], v[2:3] op_sel:[0,0,1] op_sel_hi:[0,1,0] neg_lo:[0,0,1] neg_hi:[0,0,1]
	v_mov_b32_e32 v9, v3
	s_waitcnt lgkmcnt(5)
	v_pk_mul_f32 v[2:3], v[122:123], v[26:27] op_sel_hi:[0,1]
	v_pk_fma_f32 v[18:19], v[20:21], v[26:27], v[2:3] op_sel:[0,0,1] op_sel_hi:[1,1,0]
	v_pk_fma_f32 v[2:3], v[20:21], v[26:27], v[2:3] op_sel:[0,0,1] op_sel_hi:[0,1,0] neg_lo:[0,0,1] neg_hi:[0,0,1]
	v_mov_b32_e32 v19, v3
	s_waitcnt lgkmcnt(4)
	v_pk_mul_f32 v[2:3], v[50:51], v[30:31] op_sel:[1,0]
	s_nop 0
	v_pk_fma_f32 v[20:21], v[50:51], v[30:31], v[2:3] op_sel:[0,0,1] op_sel_hi:[1,1,0]
	v_pk_fma_f32 v[2:3], v[50:51], v[30:31], v[2:3] op_sel:[0,0,1] op_sel_hi:[0,1,0] neg_lo:[0,0,1] neg_hi:[0,0,1]
	v_mov_b32_e32 v21, v3
	s_waitcnt lgkmcnt(3)
	v_pk_mul_f32 v[2:3], v[124:125], v[34:35] op_sel_hi:[0,1]
	v_pk_fma_f32 v[22:23], v[52:53], v[34:35], v[2:3] op_sel:[0,0,1] op_sel_hi:[1,1,0]
	v_pk_fma_f32 v[2:3], v[52:53], v[34:35], v[2:3] op_sel:[0,0,1] op_sel_hi:[0,1,0] neg_lo:[0,0,1] neg_hi:[0,0,1]
	v_mov_b32_e32 v23, v3
	s_waitcnt lgkmcnt(2)
	v_pk_mul_f32 v[2:3], v[54:55], v[38:39] op_sel:[1,0]
	s_nop 0
	v_pk_fma_f32 v[26:27], v[54:55], v[38:39], v[2:3] op_sel:[0,0,1] op_sel_hi:[1,1,0]
	v_pk_fma_f32 v[2:3], v[54:55], v[38:39], v[2:3] op_sel:[0,0,1] op_sel_hi:[0,1,0] neg_lo:[0,0,1] neg_hi:[0,0,1]
	v_mov_b32_e32 v27, v3
	s_waitcnt lgkmcnt(1)
	v_pk_mul_f32 v[2:3], v[126:127], v[90:91] op_sel_hi:[0,1]
	v_pk_fma_f32 v[30:31], v[56:57], v[90:91], v[2:3] op_sel:[0,0,1] op_sel_hi:[1,1,0]
	v_pk_fma_f32 v[2:3], v[56:57], v[90:91], v[2:3] op_sel:[0,0,1] op_sel_hi:[0,1,0] neg_lo:[0,0,1] neg_hi:[0,0,1]
	v_mov_b32_e32 v31, v3
	s_waitcnt lgkmcnt(0)
	v_pk_mul_f32 v[2:3], v[112:113], v[94:95] op_sel:[1,0]
	v_pk_add_f32 v[26:27], v[8:9], v[26:27] neg_lo:[0,1] neg_hi:[0,1]
	v_pk_fma_f32 v[34:35], v[112:113], v[94:95], v[2:3] op_sel:[0,0,1] op_sel_hi:[1,1,0]
	v_pk_fma_f32 v[2:3], v[112:113], v[94:95], v[2:3] op_sel:[0,0,1] op_sel_hi:[0,1,0] neg_lo:[0,0,1] neg_hi:[0,0,1]
	v_mov_b32_e32 v35, v3
	v_pk_add_f32 v[2:3], v[14:15], v[22:23] neg_lo:[0,1] neg_hi:[0,1]
	v_pk_add_f32 v[22:23], v[18:19], v[30:31] neg_lo:[0,1] neg_hi:[0,1]
	;; [unrolled: 1-line block ×3, first 2 shown]
	v_pk_fma_f32 v[18:19], v[18:19], 2.0, v[22:23] op_sel_hi:[1,0,1] neg_lo:[0,0,1] neg_hi:[0,0,1]
	v_pk_add_f32 v[34:35], v[2:3], v[22:23] op_sel:[0,1] op_sel_hi:[1,0]
	v_pk_add_f32 v[22:23], v[2:3], v[22:23] op_sel:[0,1] op_sel_hi:[1,0] neg_lo:[0,1] neg_hi:[0,1]
	v_pk_fma_f32 v[20:21], v[20:21], 2.0, v[30:31] op_sel_hi:[1,0,1] neg_lo:[0,0,1] neg_hi:[0,0,1]
	v_mov_b32_e32 v35, v23
	v_pk_add_f32 v[22:23], v[26:27], v[30:31] op_sel:[0,1] op_sel_hi:[1,0]
	v_pk_add_f32 v[30:31], v[26:27], v[30:31] op_sel:[0,1] op_sel_hi:[1,0] neg_lo:[0,1] neg_hi:[0,1]
	v_pk_fma_f32 v[14:15], v[14:15], 2.0, v[2:3] op_sel_hi:[1,0,1] neg_lo:[0,0,1] neg_hi:[0,0,1]
	v_mov_b32_e32 v23, v31
	v_pk_fma_f32 v[8:9], v[8:9], 2.0, v[26:27] op_sel_hi:[1,0,1] neg_lo:[0,0,1] neg_hi:[0,0,1]
	v_pk_fma_f32 v[2:3], v[2:3], 2.0, v[34:35] op_sel_hi:[1,0,1] neg_lo:[0,0,1] neg_hi:[0,0,1]
	;; [unrolled: 1-line block ×3, first 2 shown]
	v_pk_add_f32 v[18:19], v[14:15], v[18:19] neg_lo:[0,1] neg_hi:[0,1]
	v_pk_mul_f32 v[30:31], v[26:27], s[2:3] op_sel_hi:[1,0]
	v_pk_fma_f32 v[26:27], v[26:27], s[2:3], v[2:3] op_sel_hi:[1,0,1] neg_lo:[1,0,0] neg_hi:[1,0,0]
	v_pk_add_f32 v[20:21], v[8:9], v[20:21] neg_lo:[0,1] neg_hi:[0,1]
	v_pk_add_f32 v[38:39], v[26:27], v[30:31] op_sel:[0,1] op_sel_hi:[1,0]
	v_pk_add_f32 v[26:27], v[26:27], v[30:31] op_sel:[0,1] op_sel_hi:[1,0] neg_lo:[0,1] neg_hi:[0,1]
	v_pk_fma_f32 v[8:9], v[8:9], 2.0, v[20:21] op_sel_hi:[1,0,1] neg_lo:[0,0,1] neg_hi:[0,0,1]
	v_mov_b32_e32 v39, v27
	v_pk_add_f32 v[26:27], v[18:19], v[20:21] op_sel:[0,1] op_sel_hi:[1,0]
	v_pk_add_f32 v[20:21], v[18:19], v[20:21] op_sel:[0,1] op_sel_hi:[1,0] neg_lo:[0,1] neg_hi:[0,1]
	v_pk_fma_f32 v[14:15], v[14:15], 2.0, v[18:19] op_sel_hi:[1,0,1] neg_lo:[0,0,1] neg_hi:[0,0,1]
	v_mov_b32_e32 v27, v21
	v_pk_mul_f32 v[20:21], v[22:23], s[2:3] op_sel_hi:[1,0]
	v_pk_fma_f32 v[22:23], v[22:23], s[2:3], v[34:35] op_sel_hi:[1,0,1]
	v_pk_add_f32 v[8:9], v[14:15], v[8:9] neg_lo:[0,1] neg_hi:[0,1]
	v_pk_add_f32 v[30:31], v[22:23], v[20:21] op_sel:[0,1] op_sel_hi:[1,0]
	v_pk_add_f32 v[20:21], v[22:23], v[20:21] op_sel:[0,1] op_sel_hi:[1,0] neg_lo:[0,1] neg_hi:[0,1]
	v_pk_mul_f32 v[22:23], v[10:11], v[24:25] op_sel:[1,0]
	v_mov_b32_e32 v31, v21
	v_pk_fma_f32 v[20:21], v[34:35], 2.0, v[30:31] op_sel_hi:[1,0,1] neg_lo:[0,0,1] neg_hi:[0,0,1]
	v_pk_fma_f32 v[34:35], v[10:11], v[24:25], v[22:23] op_sel:[0,0,1] op_sel_hi:[1,1,0]
	v_pk_fma_f32 v[10:11], v[10:11], v[24:25], v[22:23] op_sel:[0,0,1] op_sel_hi:[0,1,0] neg_lo:[0,0,1] neg_hi:[0,0,1]
	v_mov_b32_e32 v35, v11
	v_pk_mul_f32 v[10:11], v[102:103], v[28:29] op_sel_hi:[0,1]
	v_pk_fma_f32 v[22:23], v[12:13], v[28:29], v[10:11] op_sel:[0,0,1] op_sel_hi:[1,1,0]
	v_pk_fma_f32 v[10:11], v[12:13], v[28:29], v[10:11] op_sel:[0,0,1] op_sel_hi:[0,1,0] neg_lo:[0,0,1] neg_hi:[0,0,1]
	v_mov_b32_e32 v23, v11
	v_pk_mul_f32 v[10:11], v[42:43], v[32:33] op_sel:[1,0]
	v_pk_fma_f32 v[14:15], v[14:15], 2.0, v[8:9] op_sel_hi:[1,0,1] neg_lo:[0,0,1] neg_hi:[0,0,1]
	v_pk_fma_f32 v[12:13], v[42:43], v[32:33], v[10:11] op_sel:[0,0,1] op_sel_hi:[1,1,0]
	v_pk_fma_f32 v[10:11], v[42:43], v[32:33], v[10:11] op_sel:[0,0,1] op_sel_hi:[0,1,0] neg_lo:[0,0,1] neg_hi:[0,0,1]
	v_mov_b32_e32 v13, v11
	v_pk_mul_f32 v[10:11], v[106:107], v[36:37] op_sel_hi:[0,1]
	v_pk_fma_f32 v[24:25], v[44:45], v[36:37], v[10:11] op_sel:[0,0,1] op_sel_hi:[1,1,0]
	v_pk_fma_f32 v[10:11], v[44:45], v[36:37], v[10:11] op_sel:[0,0,1] op_sel_hi:[0,1,0] neg_lo:[0,0,1] neg_hi:[0,0,1]
	v_mov_b32_e32 v25, v11
	v_pk_mul_f32 v[10:11], v[46:47], v[40:41] op_sel:[1,0]
	;; [unrolled: 9-line block ×3, first 2 shown]
	v_pk_add_f32 v[28:29], v[34:35], v[28:29] neg_lo:[0,1] neg_hi:[0,1]
	v_pk_fma_f32 v[36:37], v[100:101], v[96:97], v[10:11] op_sel:[0,0,1] op_sel_hi:[1,1,0]
	v_pk_fma_f32 v[10:11], v[100:101], v[96:97], v[10:11] op_sel:[0,0,1] op_sel_hi:[0,1,0] neg_lo:[0,0,1] neg_hi:[0,0,1]
	v_mov_b32_e32 v37, v11
	v_pk_add_f32 v[10:11], v[16:17], v[24:25] neg_lo:[0,1] neg_hi:[0,1]
	v_pk_add_f32 v[24:25], v[22:23], v[32:33] neg_lo:[0,1] neg_hi:[0,1]
	v_pk_fma_f32 v[32:33], v[34:35], 2.0, v[28:29] op_sel_hi:[1,0,1] neg_lo:[0,0,1] neg_hi:[0,0,1]
	v_pk_add_f32 v[34:35], v[12:13], v[36:37] neg_lo:[0,1] neg_hi:[0,1]
	v_pk_fma_f32 v[16:17], v[16:17], 2.0, v[10:11] op_sel_hi:[1,0,1] neg_lo:[0,0,1] neg_hi:[0,0,1]
	v_pk_fma_f32 v[22:23], v[22:23], 2.0, v[24:25] op_sel_hi:[1,0,1] neg_lo:[0,0,1] neg_hi:[0,0,1]
	;; [unrolled: 1-line block ×3, first 2 shown]
	v_pk_add_f32 v[22:23], v[16:17], v[22:23] neg_lo:[0,1] neg_hi:[0,1]
	v_pk_add_f32 v[12:13], v[32:33], v[12:13] neg_lo:[0,1] neg_hi:[0,1]
	v_pk_fma_f32 v[16:17], v[16:17], 2.0, v[22:23] op_sel_hi:[1,0,1] neg_lo:[0,0,1] neg_hi:[0,0,1]
	v_pk_fma_f32 v[32:33], v[32:33], 2.0, v[12:13] op_sel_hi:[1,0,1] neg_lo:[0,0,1] neg_hi:[0,0,1]
	v_pk_fma_f32 v[18:19], v[18:19], 2.0, v[26:27] op_sel_hi:[1,0,1] neg_lo:[0,0,1] neg_hi:[0,0,1]
	v_pk_add_f32 v[32:33], v[16:17], v[32:33] neg_lo:[0,1] neg_hi:[0,1]
	s_nop 0
	v_pk_fma_f32 v[16:17], v[16:17], 2.0, v[32:33] op_sel_hi:[1,0,1] neg_lo:[0,0,1] neg_hi:[0,0,1]
	ds_write2st64_b64 v1, v[14:15], v[16:17] offset1:8
	v_pk_add_f32 v[14:15], v[10:11], v[24:25] op_sel:[0,1] op_sel_hi:[1,0]
	v_pk_add_f32 v[16:17], v[10:11], v[24:25] op_sel:[0,1] op_sel_hi:[1,0] neg_lo:[0,1] neg_hi:[0,1]
	v_pk_add_f32 v[24:25], v[28:29], v[34:35] op_sel:[0,1] op_sel_hi:[1,0] neg_lo:[0,1] neg_hi:[0,1]
	v_mov_b32_e32 v15, v17
	v_pk_add_f32 v[16:17], v[28:29], v[34:35] op_sel:[0,1] op_sel_hi:[1,0]
	v_pk_fma_f32 v[10:11], v[10:11], 2.0, v[14:15] op_sel_hi:[1,0,1] neg_lo:[0,0,1] neg_hi:[0,0,1]
	v_mov_b32_e32 v17, v25
	v_pk_fma_f32 v[24:25], v[28:29], 2.0, v[16:17] op_sel_hi:[1,0,1] neg_lo:[0,0,1] neg_hi:[0,0,1]
	s_nop 0
	v_pk_mul_f32 v[28:29], v[24:25], s[2:3] op_sel_hi:[1,0]
	v_pk_fma_f32 v[24:25], v[24:25], s[2:3], v[10:11] op_sel_hi:[1,0,1] neg_lo:[1,0,0] neg_hi:[1,0,0]
	s_nop 0
	v_pk_add_f32 v[34:35], v[24:25], v[28:29] op_sel:[0,1] op_sel_hi:[1,0]
	v_pk_add_f32 v[24:25], v[24:25], v[28:29] op_sel:[0,1] op_sel_hi:[1,0] neg_lo:[0,1] neg_hi:[0,1]
	s_nop 0
	v_mov_b32_e32 v35, v25
	v_pk_fma_f32 v[10:11], v[10:11], 2.0, v[34:35] op_sel_hi:[1,0,1] neg_lo:[0,0,1] neg_hi:[0,0,1]
	ds_write2st64_b64 v1, v[2:3], v[10:11] offset0:16 offset1:24
	v_pk_add_f32 v[2:3], v[22:23], v[12:13] op_sel:[0,1] op_sel_hi:[1,0]
	v_pk_add_f32 v[10:11], v[22:23], v[12:13] op_sel:[0,1] op_sel_hi:[1,0] neg_lo:[0,1] neg_hi:[0,1]
	v_pk_fma_f32 v[12:13], v[16:17], s[2:3], v[14:15] op_sel_hi:[1,0,1]
	v_mov_b32_e32 v3, v11
	v_pk_fma_f32 v[10:11], v[22:23], 2.0, v[2:3] op_sel_hi:[1,0,1] neg_lo:[0,0,1] neg_hi:[0,0,1]
	ds_write2st64_b64 v1, v[18:19], v[10:11] offset0:32 offset1:40
	v_pk_mul_f32 v[10:11], v[16:17], s[2:3] op_sel_hi:[1,0]
	s_lshl_b64 s[2:3], s[4:5], 12
	v_pk_add_f32 v[16:17], v[12:13], v[10:11] op_sel:[0,1] op_sel_hi:[1,0]
	v_pk_add_f32 v[10:11], v[12:13], v[10:11] op_sel:[0,1] op_sel_hi:[1,0] neg_lo:[0,1] neg_hi:[0,1]
	s_nop 0
	v_mov_b32_e32 v17, v11
	v_pk_fma_f32 v[10:11], v[14:15], 2.0, v[16:17] op_sel_hi:[1,0,1] neg_lo:[0,0,1] neg_hi:[0,0,1]
	ds_write2st64_b64 v1, v[20:21], v[10:11] offset0:48 offset1:56
	ds_write2st64_b64 v1, v[8:9], v[32:33] offset0:64 offset1:72
	;; [unrolled: 1-line block ×5, first 2 shown]
	s_waitcnt lgkmcnt(0)
	s_barrier
	ds_read2st64_b64 v[8:11], v1 offset1:8
	v_mad_u64_u32 v[2:3], s[0:1], s4, v0, 0
	v_mov_b32_e32 v12, v3
	v_mad_u64_u32 v[12:13], s[0:1], s5, v0, v[12:13]
	v_mov_b32_e32 v3, v12
	v_lshl_add_u64 v[2:3], v[2:3], 3, v[4:5]
	s_waitcnt lgkmcnt(0)
	v_pk_mul_f32 v[4:5], v[58:59], v[8:9] op_sel:[1,0]
	s_mov_b32 s0, 0x39000000
	v_pk_fma_f32 v[6:7], v[58:59], v[8:9], v[4:5] op_sel:[0,0,1] op_sel_hi:[1,1,0]
	v_pk_fma_f32 v[4:5], v[58:59], v[8:9], v[4:5] op_sel:[0,0,1] op_sel_hi:[0,1,0] neg_lo:[0,0,1] neg_hi:[0,0,1]
	v_mov_b32_e32 v7, v5
	v_pk_mul_f32 v[4:5], v[6:7], s[0:1] op_sel_hi:[1,0]
	global_store_dwordx2 v[2:3], v[4:5], off
	v_lshl_add_u64 v[6:7], v[2:3], 0, s[2:3]
	v_pk_mul_f32 v[2:3], v[60:61], v[10:11] op_sel:[1,0]
	s_nop 0
	v_pk_fma_f32 v[8:9], v[60:61], v[10:11], v[2:3] op_sel:[0,0,1] op_sel_hi:[1,1,0]
	v_pk_fma_f32 v[10:11], v[60:61], v[10:11], v[2:3] op_sel:[0,0,1] op_sel_hi:[0,1,0] neg_lo:[0,0,1] neg_hi:[0,0,1]
	ds_read2st64_b64 v[2:5], v1 offset0:16 offset1:24
	v_mov_b32_e32 v9, v11
	v_pk_mul_f32 v[8:9], v[8:9], s[0:1] op_sel_hi:[1,0]
	global_store_dwordx2 v[6:7], v[8:9], off
	v_lshl_add_u64 v[6:7], v[6:7], 0, s[2:3]
	s_waitcnt lgkmcnt(0)
	v_pk_mul_f32 v[8:9], v[62:63], v[2:3] op_sel:[1,0]
	s_nop 0
	v_pk_fma_f32 v[10:11], v[62:63], v[2:3], v[8:9] op_sel:[0,0,1] op_sel_hi:[1,1,0]
	v_pk_fma_f32 v[2:3], v[62:63], v[2:3], v[8:9] op_sel:[0,0,1] op_sel_hi:[0,1,0] neg_lo:[0,0,1] neg_hi:[0,0,1]
	v_mov_b32_e32 v11, v3
	v_pk_mul_f32 v[2:3], v[10:11], s[0:1] op_sel_hi:[1,0]
	global_store_dwordx2 v[6:7], v[2:3], off
	v_pk_mul_f32 v[2:3], v[66:67], v[4:5] op_sel:[1,0]
	v_lshl_add_u64 v[6:7], v[6:7], 0, s[2:3]
	v_pk_fma_f32 v[8:9], v[66:67], v[4:5], v[2:3] op_sel:[0,0,1] op_sel_hi:[1,1,0]
	v_pk_fma_f32 v[10:11], v[66:67], v[4:5], v[2:3] op_sel:[0,0,1] op_sel_hi:[0,1,0] neg_lo:[0,0,1] neg_hi:[0,0,1]
	ds_read2st64_b64 v[2:5], v1 offset0:32 offset1:40
	v_mov_b32_e32 v9, v11
	v_pk_mul_f32 v[8:9], v[8:9], s[0:1] op_sel_hi:[1,0]
	global_store_dwordx2 v[6:7], v[8:9], off
	v_lshl_add_u64 v[6:7], v[6:7], 0, s[2:3]
	s_waitcnt lgkmcnt(0)
	v_pk_mul_f32 v[8:9], v[64:65], v[2:3] op_sel:[1,0]
	s_nop 0
	v_pk_fma_f32 v[10:11], v[64:65], v[2:3], v[8:9] op_sel:[0,0,1] op_sel_hi:[1,1,0]
	v_pk_fma_f32 v[2:3], v[64:65], v[2:3], v[8:9] op_sel:[0,0,1] op_sel_hi:[0,1,0] neg_lo:[0,0,1] neg_hi:[0,0,1]
	v_mov_b32_e32 v11, v3
	v_pk_mul_f32 v[2:3], v[10:11], s[0:1] op_sel_hi:[1,0]
	global_store_dwordx2 v[6:7], v[2:3], off
	v_pk_mul_f32 v[2:3], v[70:71], v[4:5] op_sel:[1,0]
	v_lshl_add_u64 v[6:7], v[6:7], 0, s[2:3]
	;; [unrolled: 17-line block ×6, first 2 shown]
	v_pk_fma_f32 v[8:9], v[86:87], v[4:5], v[2:3] op_sel:[0,0,1] op_sel_hi:[1,1,0]
	v_pk_fma_f32 v[4:5], v[86:87], v[4:5], v[2:3] op_sel:[0,0,1] op_sel_hi:[0,1,0] neg_lo:[0,0,1] neg_hi:[0,0,1]
	ds_read2st64_b64 v[0:3], v1 offset0:112 offset1:120
	v_mov_b32_e32 v9, v5
	v_pk_mul_f32 v[4:5], v[8:9], s[0:1] op_sel_hi:[1,0]
	global_store_dwordx2 v[6:7], v[4:5], off
	v_lshl_add_u64 v[4:5], v[6:7], 0, s[2:3]
	s_waitcnt lgkmcnt(0)
	v_pk_mul_f32 v[6:7], v[84:85], v[0:1] op_sel:[1,0]
	s_nop 0
	v_pk_fma_f32 v[8:9], v[84:85], v[0:1], v[6:7] op_sel:[0,0,1] op_sel_hi:[1,1,0]
	v_pk_fma_f32 v[0:1], v[84:85], v[0:1], v[6:7] op_sel:[0,0,1] op_sel_hi:[0,1,0] neg_lo:[0,0,1] neg_hi:[0,0,1]
	v_mov_b32_e32 v9, v1
	v_pk_mul_f32 v[0:1], v[8:9], s[0:1] op_sel_hi:[1,0]
	global_store_dwordx2 v[4:5], v[0:1], off
	v_lshl_add_u64 v[0:1], v[4:5], 0, s[2:3]
	v_pk_mul_f32 v[4:5], v[88:89], v[2:3] op_sel:[1,0]
	s_nop 0
	v_pk_fma_f32 v[6:7], v[88:89], v[2:3], v[4:5] op_sel:[0,0,1] op_sel_hi:[1,1,0]
	v_pk_fma_f32 v[2:3], v[88:89], v[2:3], v[4:5] op_sel:[0,0,1] op_sel_hi:[0,1,0] neg_lo:[0,0,1] neg_hi:[0,0,1]
	v_mov_b32_e32 v7, v3
	v_pk_mul_f32 v[2:3], v[6:7], s[0:1] op_sel_hi:[1,0]
	global_store_dwordx2 v[0:1], v[2:3], off
.LBB0_2:
	s_endpgm
	.section	.rodata,"a",@progbits
	.p2align	6, 0x0
	.amdhsa_kernel bluestein_single_back_len8192_dim1_sp_op_CI_CI
		.amdhsa_group_segment_fixed_size 65536
		.amdhsa_private_segment_fixed_size 0
		.amdhsa_kernarg_size 104
		.amdhsa_user_sgpr_count 2
		.amdhsa_user_sgpr_dispatch_ptr 0
		.amdhsa_user_sgpr_queue_ptr 0
		.amdhsa_user_sgpr_kernarg_segment_ptr 1
		.amdhsa_user_sgpr_dispatch_id 0
		.amdhsa_user_sgpr_kernarg_preload_length 0
		.amdhsa_user_sgpr_kernarg_preload_offset 0
		.amdhsa_user_sgpr_private_segment_size 0
		.amdhsa_uses_dynamic_stack 0
		.amdhsa_enable_private_segment 0
		.amdhsa_system_sgpr_workgroup_id_x 1
		.amdhsa_system_sgpr_workgroup_id_y 0
		.amdhsa_system_sgpr_workgroup_id_z 0
		.amdhsa_system_sgpr_workgroup_info 0
		.amdhsa_system_vgpr_workitem_id 0
		.amdhsa_next_free_vgpr 192
		.amdhsa_next_free_sgpr 20
		.amdhsa_accum_offset 192
		.amdhsa_reserve_vcc 1
		.amdhsa_float_round_mode_32 0
		.amdhsa_float_round_mode_16_64 0
		.amdhsa_float_denorm_mode_32 3
		.amdhsa_float_denorm_mode_16_64 3
		.amdhsa_dx10_clamp 1
		.amdhsa_ieee_mode 1
		.amdhsa_fp16_overflow 0
		.amdhsa_tg_split 0
		.amdhsa_exception_fp_ieee_invalid_op 0
		.amdhsa_exception_fp_denorm_src 0
		.amdhsa_exception_fp_ieee_div_zero 0
		.amdhsa_exception_fp_ieee_overflow 0
		.amdhsa_exception_fp_ieee_underflow 0
		.amdhsa_exception_fp_ieee_inexact 0
		.amdhsa_exception_int_div_zero 0
	.end_amdhsa_kernel
	.text
.Lfunc_end0:
	.size	bluestein_single_back_len8192_dim1_sp_op_CI_CI, .Lfunc_end0-bluestein_single_back_len8192_dim1_sp_op_CI_CI
                                        ; -- End function
	.section	.AMDGPU.csdata,"",@progbits
; Kernel info:
; codeLenInByte = 12528
; NumSgprs: 26
; NumVgprs: 192
; NumAgprs: 0
; TotalNumVgprs: 192
; ScratchSize: 0
; MemoryBound: 0
; FloatMode: 240
; IeeeMode: 1
; LDSByteSize: 65536 bytes/workgroup (compile time only)
; SGPRBlocks: 3
; VGPRBlocks: 23
; NumSGPRsForWavesPerEU: 26
; NumVGPRsForWavesPerEU: 192
; AccumOffset: 192
; Occupancy: 2
; WaveLimiterHint : 1
; COMPUTE_PGM_RSRC2:SCRATCH_EN: 0
; COMPUTE_PGM_RSRC2:USER_SGPR: 2
; COMPUTE_PGM_RSRC2:TRAP_HANDLER: 0
; COMPUTE_PGM_RSRC2:TGID_X_EN: 1
; COMPUTE_PGM_RSRC2:TGID_Y_EN: 0
; COMPUTE_PGM_RSRC2:TGID_Z_EN: 0
; COMPUTE_PGM_RSRC2:TIDIG_COMP_CNT: 0
; COMPUTE_PGM_RSRC3_GFX90A:ACCUM_OFFSET: 47
; COMPUTE_PGM_RSRC3_GFX90A:TG_SPLIT: 0
	.text
	.p2alignl 6, 3212836864
	.fill 256, 4, 3212836864
	.type	__hip_cuid_783c0183e39cae42,@object ; @__hip_cuid_783c0183e39cae42
	.section	.bss,"aw",@nobits
	.globl	__hip_cuid_783c0183e39cae42
__hip_cuid_783c0183e39cae42:
	.byte	0                               ; 0x0
	.size	__hip_cuid_783c0183e39cae42, 1

	.ident	"AMD clang version 19.0.0git (https://github.com/RadeonOpenCompute/llvm-project roc-6.4.0 25133 c7fe45cf4b819c5991fe208aaa96edf142730f1d)"
	.section	".note.GNU-stack","",@progbits
	.addrsig
	.addrsig_sym __hip_cuid_783c0183e39cae42
	.amdgpu_metadata
---
amdhsa.kernels:
  - .agpr_count:     0
    .args:
      - .actual_access:  read_only
        .address_space:  global
        .offset:         0
        .size:           8
        .value_kind:     global_buffer
      - .actual_access:  read_only
        .address_space:  global
        .offset:         8
        .size:           8
        .value_kind:     global_buffer
      - .actual_access:  read_only
        .address_space:  global
        .offset:         16
        .size:           8
        .value_kind:     global_buffer
      - .actual_access:  read_only
        .address_space:  global
        .offset:         24
        .size:           8
        .value_kind:     global_buffer
      - .actual_access:  read_only
        .address_space:  global
        .offset:         32
        .size:           8
        .value_kind:     global_buffer
      - .offset:         40
        .size:           8
        .value_kind:     by_value
      - .address_space:  global
        .offset:         48
        .size:           8
        .value_kind:     global_buffer
      - .address_space:  global
        .offset:         56
        .size:           8
        .value_kind:     global_buffer
      - .address_space:  global
        .offset:         64
        .size:           8
        .value_kind:     global_buffer
      - .address_space:  global
        .offset:         72
        .size:           8
        .value_kind:     global_buffer
      - .offset:         80
        .size:           4
        .value_kind:     by_value
      - .address_space:  global
        .offset:         88
        .size:           8
        .value_kind:     global_buffer
      - .address_space:  global
        .offset:         96
        .size:           8
        .value_kind:     global_buffer
    .group_segment_fixed_size: 65536
    .kernarg_segment_align: 8
    .kernarg_segment_size: 104
    .language:       OpenCL C
    .language_version:
      - 2
      - 0
    .max_flat_workgroup_size: 512
    .name:           bluestein_single_back_len8192_dim1_sp_op_CI_CI
    .private_segment_fixed_size: 0
    .sgpr_count:     26
    .sgpr_spill_count: 0
    .symbol:         bluestein_single_back_len8192_dim1_sp_op_CI_CI.kd
    .uniform_work_group_size: 1
    .uses_dynamic_stack: false
    .vgpr_count:     192
    .vgpr_spill_count: 0
    .wavefront_size: 64
amdhsa.target:   amdgcn-amd-amdhsa--gfx950
amdhsa.version:
  - 1
  - 2
...

	.end_amdgpu_metadata
